;; amdgpu-corpus repo=ROCm/rocFFT kind=compiled arch=gfx1030 opt=O3
	.text
	.amdgcn_target "amdgcn-amd-amdhsa--gfx1030"
	.amdhsa_code_object_version 6
	.protected	fft_rtc_back_len1530_factors_17_3_6_5_wgs_102_tpt_102_halfLds_half_op_CI_CI_unitstride_sbrr_dirReg ; -- Begin function fft_rtc_back_len1530_factors_17_3_6_5_wgs_102_tpt_102_halfLds_half_op_CI_CI_unitstride_sbrr_dirReg
	.globl	fft_rtc_back_len1530_factors_17_3_6_5_wgs_102_tpt_102_halfLds_half_op_CI_CI_unitstride_sbrr_dirReg
	.p2align	8
	.type	fft_rtc_back_len1530_factors_17_3_6_5_wgs_102_tpt_102_halfLds_half_op_CI_CI_unitstride_sbrr_dirReg,@function
fft_rtc_back_len1530_factors_17_3_6_5_wgs_102_tpt_102_halfLds_half_op_CI_CI_unitstride_sbrr_dirReg: ; @fft_rtc_back_len1530_factors_17_3_6_5_wgs_102_tpt_102_halfLds_half_op_CI_CI_unitstride_sbrr_dirReg
; %bb.0:
	s_clause 0x2
	s_load_dwordx4 s[12:15], s[4:5], 0x0
	s_load_dwordx4 s[8:11], s[4:5], 0x58
	;; [unrolled: 1-line block ×3, first 2 shown]
	v_mul_u32_u24_e32 v1, 0x283, v0
	v_mov_b32_e32 v3, 0
	v_add_nc_u32_sdwa v5, s6, v1 dst_sel:DWORD dst_unused:UNUSED_PAD src0_sel:DWORD src1_sel:WORD_1
	v_mov_b32_e32 v1, 0
	v_mov_b32_e32 v6, v3
	v_mov_b32_e32 v2, 0
	s_waitcnt lgkmcnt(0)
	v_cmp_lt_u64_e64 s0, s[14:15], 2
	s_and_b32 vcc_lo, exec_lo, s0
	s_cbranch_vccnz .LBB0_8
; %bb.1:
	s_load_dwordx2 s[0:1], s[4:5], 0x10
	v_mov_b32_e32 v1, 0
	v_mov_b32_e32 v2, 0
	s_add_u32 s2, s18, 8
	s_addc_u32 s3, s19, 0
	s_add_u32 s6, s16, 8
	s_addc_u32 s7, s17, 0
	v_mov_b32_e32 v9, v2
	v_mov_b32_e32 v8, v1
	s_mov_b64 s[22:23], 1
	s_waitcnt lgkmcnt(0)
	s_add_u32 s20, s0, 8
	s_addc_u32 s21, s1, 0
.LBB0_2:                                ; =>This Inner Loop Header: Depth=1
	s_load_dwordx2 s[24:25], s[20:21], 0x0
                                        ; implicit-def: $vgpr12_vgpr13
	s_mov_b32 s0, exec_lo
	s_waitcnt lgkmcnt(0)
	v_or_b32_e32 v4, s25, v6
	v_cmpx_ne_u64_e32 0, v[3:4]
	s_xor_b32 s1, exec_lo, s0
	s_cbranch_execz .LBB0_4
; %bb.3:                                ;   in Loop: Header=BB0_2 Depth=1
	v_cvt_f32_u32_e32 v4, s24
	v_cvt_f32_u32_e32 v7, s25
	s_sub_u32 s0, 0, s24
	s_subb_u32 s26, 0, s25
	v_fmac_f32_e32 v4, 0x4f800000, v7
	v_rcp_f32_e32 v4, v4
	v_mul_f32_e32 v4, 0x5f7ffffc, v4
	v_mul_f32_e32 v7, 0x2f800000, v4
	v_trunc_f32_e32 v7, v7
	v_fmac_f32_e32 v4, 0xcf800000, v7
	v_cvt_u32_f32_e32 v7, v7
	v_cvt_u32_f32_e32 v4, v4
	v_mul_lo_u32 v10, s0, v7
	v_mul_hi_u32 v11, s0, v4
	v_mul_lo_u32 v12, s26, v4
	v_add_nc_u32_e32 v10, v11, v10
	v_mul_lo_u32 v11, s0, v4
	v_add_nc_u32_e32 v10, v10, v12
	v_mul_hi_u32 v12, v4, v11
	v_mul_lo_u32 v13, v4, v10
	v_mul_hi_u32 v14, v4, v10
	v_mul_hi_u32 v15, v7, v11
	v_mul_lo_u32 v11, v7, v11
	v_mul_hi_u32 v16, v7, v10
	v_mul_lo_u32 v10, v7, v10
	v_add_co_u32 v12, vcc_lo, v12, v13
	v_add_co_ci_u32_e32 v13, vcc_lo, 0, v14, vcc_lo
	v_add_co_u32 v11, vcc_lo, v12, v11
	v_add_co_ci_u32_e32 v11, vcc_lo, v13, v15, vcc_lo
	v_add_co_ci_u32_e32 v12, vcc_lo, 0, v16, vcc_lo
	v_add_co_u32 v10, vcc_lo, v11, v10
	v_add_co_ci_u32_e32 v11, vcc_lo, 0, v12, vcc_lo
	v_add_co_u32 v4, vcc_lo, v4, v10
	v_add_co_ci_u32_e32 v7, vcc_lo, v7, v11, vcc_lo
	v_mul_hi_u32 v10, s0, v4
	v_mul_lo_u32 v12, s26, v4
	v_mul_lo_u32 v11, s0, v7
	v_add_nc_u32_e32 v10, v10, v11
	v_mul_lo_u32 v11, s0, v4
	v_add_nc_u32_e32 v10, v10, v12
	v_mul_hi_u32 v12, v4, v11
	v_mul_lo_u32 v13, v4, v10
	v_mul_hi_u32 v14, v4, v10
	v_mul_hi_u32 v15, v7, v11
	v_mul_lo_u32 v11, v7, v11
	v_mul_hi_u32 v16, v7, v10
	v_mul_lo_u32 v10, v7, v10
	v_add_co_u32 v12, vcc_lo, v12, v13
	v_add_co_ci_u32_e32 v13, vcc_lo, 0, v14, vcc_lo
	v_add_co_u32 v11, vcc_lo, v12, v11
	v_add_co_ci_u32_e32 v11, vcc_lo, v13, v15, vcc_lo
	v_add_co_ci_u32_e32 v12, vcc_lo, 0, v16, vcc_lo
	v_add_co_u32 v10, vcc_lo, v11, v10
	v_add_co_ci_u32_e32 v11, vcc_lo, 0, v12, vcc_lo
	v_add_co_u32 v4, vcc_lo, v4, v10
	v_add_co_ci_u32_e32 v7, vcc_lo, v7, v11, vcc_lo
	v_mul_hi_u32 v16, v5, v4
	v_mad_u64_u32 v[12:13], null, v6, v4, 0
	v_mad_u64_u32 v[10:11], null, v5, v7, 0
	;; [unrolled: 1-line block ×3, first 2 shown]
	v_add_co_u32 v4, vcc_lo, v16, v10
	v_add_co_ci_u32_e32 v7, vcc_lo, 0, v11, vcc_lo
	v_add_co_u32 v4, vcc_lo, v4, v12
	v_add_co_ci_u32_e32 v4, vcc_lo, v7, v13, vcc_lo
	v_add_co_ci_u32_e32 v7, vcc_lo, 0, v15, vcc_lo
	v_add_co_u32 v4, vcc_lo, v4, v14
	v_add_co_ci_u32_e32 v7, vcc_lo, 0, v7, vcc_lo
	v_mul_lo_u32 v12, s25, v4
	v_mad_u64_u32 v[10:11], null, s24, v4, 0
	v_mul_lo_u32 v13, s24, v7
	v_sub_co_u32 v10, vcc_lo, v5, v10
	v_add3_u32 v11, v11, v13, v12
	v_sub_nc_u32_e32 v12, v6, v11
	v_subrev_co_ci_u32_e64 v12, s0, s25, v12, vcc_lo
	v_add_co_u32 v13, s0, v4, 2
	v_add_co_ci_u32_e64 v14, s0, 0, v7, s0
	v_sub_co_u32 v15, s0, v10, s24
	v_sub_co_ci_u32_e32 v11, vcc_lo, v6, v11, vcc_lo
	v_subrev_co_ci_u32_e64 v12, s0, 0, v12, s0
	v_cmp_le_u32_e32 vcc_lo, s24, v15
	v_cmp_eq_u32_e64 s0, s25, v11
	v_cndmask_b32_e64 v15, 0, -1, vcc_lo
	v_cmp_le_u32_e32 vcc_lo, s25, v12
	v_cndmask_b32_e64 v16, 0, -1, vcc_lo
	v_cmp_le_u32_e32 vcc_lo, s24, v10
	;; [unrolled: 2-line block ×3, first 2 shown]
	v_cndmask_b32_e64 v17, 0, -1, vcc_lo
	v_cmp_eq_u32_e32 vcc_lo, s25, v12
	v_cndmask_b32_e64 v10, v17, v10, s0
	v_cndmask_b32_e32 v12, v16, v15, vcc_lo
	v_add_co_u32 v15, vcc_lo, v4, 1
	v_add_co_ci_u32_e32 v16, vcc_lo, 0, v7, vcc_lo
	v_cmp_ne_u32_e32 vcc_lo, 0, v12
	v_cndmask_b32_e32 v11, v16, v14, vcc_lo
	v_cndmask_b32_e32 v12, v15, v13, vcc_lo
	v_cmp_ne_u32_e32 vcc_lo, 0, v10
	v_cndmask_b32_e32 v13, v7, v11, vcc_lo
	v_cndmask_b32_e32 v12, v4, v12, vcc_lo
.LBB0_4:                                ;   in Loop: Header=BB0_2 Depth=1
	s_andn2_saveexec_b32 s0, s1
	s_cbranch_execz .LBB0_6
; %bb.5:                                ;   in Loop: Header=BB0_2 Depth=1
	v_cvt_f32_u32_e32 v4, s24
	s_sub_i32 s1, 0, s24
	v_mov_b32_e32 v13, v3
	v_rcp_iflag_f32_e32 v4, v4
	v_mul_f32_e32 v4, 0x4f7ffffe, v4
	v_cvt_u32_f32_e32 v4, v4
	v_mul_lo_u32 v7, s1, v4
	v_mul_hi_u32 v7, v4, v7
	v_add_nc_u32_e32 v4, v4, v7
	v_mul_hi_u32 v4, v5, v4
	v_mul_lo_u32 v7, v4, s24
	v_add_nc_u32_e32 v10, 1, v4
	v_sub_nc_u32_e32 v7, v5, v7
	v_subrev_nc_u32_e32 v11, s24, v7
	v_cmp_le_u32_e32 vcc_lo, s24, v7
	v_cndmask_b32_e32 v7, v7, v11, vcc_lo
	v_cndmask_b32_e32 v4, v4, v10, vcc_lo
	v_cmp_le_u32_e32 vcc_lo, s24, v7
	v_add_nc_u32_e32 v10, 1, v4
	v_cndmask_b32_e32 v12, v4, v10, vcc_lo
.LBB0_6:                                ;   in Loop: Header=BB0_2 Depth=1
	s_or_b32 exec_lo, exec_lo, s0
	v_mul_lo_u32 v4, v13, s24
	v_mul_lo_u32 v7, v12, s25
	s_load_dwordx2 s[0:1], s[6:7], 0x0
	v_mad_u64_u32 v[10:11], null, v12, s24, 0
	s_load_dwordx2 s[24:25], s[2:3], 0x0
	s_add_u32 s22, s22, 1
	s_addc_u32 s23, s23, 0
	s_add_u32 s2, s2, 8
	s_addc_u32 s3, s3, 0
	s_add_u32 s6, s6, 8
	v_add3_u32 v4, v11, v7, v4
	v_sub_co_u32 v5, vcc_lo, v5, v10
	s_addc_u32 s7, s7, 0
	s_add_u32 s20, s20, 8
	v_sub_co_ci_u32_e32 v4, vcc_lo, v6, v4, vcc_lo
	s_addc_u32 s21, s21, 0
	s_waitcnt lgkmcnt(0)
	v_mul_lo_u32 v6, s0, v4
	v_mul_lo_u32 v7, s1, v5
	v_mad_u64_u32 v[1:2], null, s0, v5, v[1:2]
	v_mul_lo_u32 v4, s24, v4
	v_mul_lo_u32 v10, s25, v5
	v_mad_u64_u32 v[8:9], null, s24, v5, v[8:9]
	v_cmp_ge_u64_e64 s0, s[22:23], s[14:15]
	v_add3_u32 v2, v7, v2, v6
	v_add3_u32 v9, v10, v9, v4
	s_and_b32 vcc_lo, exec_lo, s0
	s_cbranch_vccnz .LBB0_9
; %bb.7:                                ;   in Loop: Header=BB0_2 Depth=1
	v_mov_b32_e32 v5, v12
	v_mov_b32_e32 v6, v13
	s_branch .LBB0_2
.LBB0_8:
	v_mov_b32_e32 v9, v2
	v_mov_b32_e32 v13, v6
	;; [unrolled: 1-line block ×4, first 2 shown]
.LBB0_9:
	s_load_dwordx2 s[0:1], s[4:5], 0x28
	v_mul_hi_u32 v3, 0x2828283, v0
	s_lshl_b64 s[4:5], s[14:15], 3
	v_mov_b32_e32 v20, 0
	v_mov_b32_e32 v33, 0
	s_add_u32 s2, s18, s4
	s_addc_u32 s3, s19, s5
                                        ; implicit-def: $vgpr26
                                        ; implicit-def: $vgpr34
                                        ; implicit-def: $vgpr25
                                        ; implicit-def: $vgpr35
                                        ; implicit-def: $vgpr24
                                        ; implicit-def: $vgpr30
                                        ; implicit-def: $vgpr23
                                        ; implicit-def: $vgpr31
                                        ; implicit-def: $vgpr22
                                        ; implicit-def: $vgpr29
                                        ; implicit-def: $vgpr21
                                        ; implicit-def: $vgpr28
                                        ; implicit-def: $vgpr19
                                        ; implicit-def: $vgpr27
                                        ; implicit-def: $vgpr16
                                        ; implicit-def: $vgpr7
                                        ; implicit-def: $vgpr4
                                        ; implicit-def: $vgpr41
                                        ; implicit-def: $vgpr5
                                        ; implicit-def: $vgpr40
                                        ; implicit-def: $vgpr6
                                        ; implicit-def: $vgpr39
                                        ; implicit-def: $vgpr11
                                        ; implicit-def: $vgpr38
                                        ; implicit-def: $vgpr14
                                        ; implicit-def: $vgpr37
                                        ; implicit-def: $vgpr15
                                        ; implicit-def: $vgpr36
                                        ; implicit-def: $vgpr17
                                        ; implicit-def: $vgpr32
                                        ; implicit-def: $vgpr18
	v_mul_u32_u24_e32 v3, 0x66, v3
	v_sub_nc_u32_e32 v10, v0, v3
	s_waitcnt lgkmcnt(0)
	v_cmp_gt_u64_e32 vcc_lo, s[0:1], v[12:13]
	v_cmp_gt_u32_e64 s0, 0x5a, v10
	s_and_b32 s1, vcc_lo, s0
	s_and_saveexec_b32 s6, s1
	s_cbranch_execz .LBB0_11
; %bb.10:
	s_add_u32 s4, s16, s4
	s_addc_u32 s5, s17, s5
	v_mov_b32_e32 v11, 0
	s_load_dwordx2 s[4:5], s[4:5], 0x0
	s_waitcnt lgkmcnt(0)
	v_mul_lo_u32 v0, s5, v12
	v_mul_lo_u32 v5, s4, v13
	v_mad_u64_u32 v[3:4], null, s4, v12, 0
	v_add3_u32 v4, v4, v5, v0
	v_lshlrev_b64 v[0:1], 2, v[1:2]
	v_lshlrev_b64 v[3:4], 2, v[3:4]
	v_add_co_u32 v5, s1, s8, v3
	v_add_co_ci_u32_e64 v4, s1, s9, v4, s1
	v_lshlrev_b64 v[2:3], 2, v[10:11]
	v_add_co_u32 v0, s1, v5, v0
	v_add_co_ci_u32_e64 v1, s1, v4, v1, s1
	v_add_co_u32 v0, s1, v0, v2
	v_add_co_ci_u32_e64 v1, s1, v1, v3, s1
	;; [unrolled: 2-line block ×4, first 2 shown]
	s_clause 0x10
	global_load_dword v33, v[0:1], off
	global_load_dword v34, v[0:1], off offset:360
	global_load_dword v35, v[0:1], off offset:720
	global_load_dword v30, v[0:1], off offset:1080
	global_load_dword v31, v[0:1], off offset:1440
	global_load_dword v29, v[0:1], off offset:1800
	global_load_dword v28, v[2:3], off offset:112
	global_load_dword v27, v[2:3], off offset:472
	global_load_dword v7, v[2:3], off offset:832
	global_load_dword v0, v[2:3], off offset:1192
	global_load_dword v32, v[2:3], off offset:1552
	global_load_dword v36, v[2:3], off offset:1912
	global_load_dword v37, v[4:5], off offset:224
	global_load_dword v38, v[4:5], off offset:584
	global_load_dword v39, v[4:5], off offset:944
	global_load_dword v40, v[4:5], off offset:1304
	global_load_dword v41, v[4:5], off offset:1664
	s_waitcnt vmcnt(16)
	v_lshrrev_b32_e32 v20, 16, v33
	s_waitcnt vmcnt(15)
	v_lshrrev_b32_e32 v26, 16, v34
	;; [unrolled: 2-line block ×17, first 2 shown]
	v_perm_b32 v33, v33, v0, 0x5040100
.LBB0_11:
	s_or_b32 exec_lo, exec_lo, s6
	v_sub_f16_e32 v48, v26, v4
	v_add_f16_e32 v61, v34, v41
	v_sub_f16_e32 v46, v25, v5
	v_add_f16_e32 v62, v35, v40
	v_sub_f16_e32 v47, v24, v6
	v_pk_mul_f16 v59, 0xb5c8b964, v48 op_sel_hi:[1,0]
	v_add_f16_e32 v60, v30, v39
	v_pk_mul_f16 v58, 0xb964bbf7, v46 op_sel_hi:[1,0]
	v_sub_f16_e32 v45, v23, v11
	v_pk_mul_f16 v57, 0xbb29ba62, v47 op_sel_hi:[1,0]
	v_pk_fma_f16 v0, 0x3b7639e9, v61, v59 op_sel_hi:[1,0,1] neg_lo:[0,0,1] neg_hi:[0,0,1]
	v_add_f16_e32 v51, v31, v38
	v_pk_fma_f16 v1, 0x39e92de8, v62, v58 op_sel_hi:[1,0,1] neg_lo:[0,0,1] neg_hi:[0,0,1]
	v_sub_f16_e32 v43, v22, v14
	v_pk_mul_f16 v56, 0xbbf7b1e1, v45 op_sel_hi:[1,0]
	v_pk_add_f16 v0, v33, v0 op_sel:[1,0]
	v_pk_fma_f16 v3, 0x3722b8d2, v60, v57 op_sel_hi:[1,0,1] neg_lo:[0,0,1] neg_hi:[0,0,1]
	v_add_f16_e32 v50, v29, v37
	v_sub_f16_e32 v2, v21, v15
	v_pk_mul_f16 v55, 0xbbb23836, v43 op_sel_hi:[1,0]
	v_pk_add_f16 v0, v0, v1
	v_pk_fma_f16 v42, 0x2de8bbdd, v51, v56 op_sel_hi:[1,0,1] neg_lo:[0,0,1] neg_hi:[0,0,1]
	v_add_f16_e32 v49, v28, v36
	v_sub_f16_e32 v1, v19, v17
	v_pk_mul_f16 v54, 0xba623bb2, v2 op_sel_hi:[1,0]
	v_pk_add_f16 v0, v0, v3
	v_pk_fma_f16 v3, 0xb461bacd, v50, v55 op_sel_hi:[1,0,1] neg_lo:[0,0,1] neg_hi:[0,0,1]
	v_add_f16_e32 v44, v7, v33
	v_pk_mul_f16 v53, 0xb8363b29, v1 op_sel_hi:[1,0]
	v_pk_fma_f16 v52, 0xb8d2b461, v49, v54 op_sel_hi:[1,0,1] neg_lo:[0,0,1] neg_hi:[0,0,1]
	v_pk_add_f16 v0, v0, v42
	v_add_f16_e32 v42, v27, v32
	v_pk_add_f16 v3, v0, v3
	v_sub_f16_e32 v0, v16, v18
	v_pk_fma_f16 v63, 0xbacd3722, v42, v53 op_sel_hi:[1,0,1] neg_lo:[0,0,1] neg_hi:[0,0,1]
	v_pk_add_f16 v3, v3, v52
	v_pk_mul_f16 v52, 0xb1e135c8, v0 op_sel_hi:[1,0]
	v_pk_add_f16 v3, v3, v63
	v_pk_fma_f16 v63, 0xbbdd3b76, v44, v52 op_sel_hi:[1,0,1] neg_lo:[0,0,1] neg_hi:[0,0,1]
	v_pk_add_f16 v3, v3, v63
	s_and_saveexec_b32 s1, s0
	s_cbranch_execz .LBB0_13
; %bb.12:
	v_add_f16_sdwa v70, v33, v34 dst_sel:DWORD dst_unused:UNUSED_PAD src0_sel:WORD_1 src1_sel:DWORD
	v_pk_mul_f16 v65, 0x3b7639e9, v61 op_sel_hi:[1,0]
	v_pk_mul_f16 v74, 0x39e92de8, v62 op_sel_hi:[1,0]
	v_mul_f16_e32 v63, 0xbbdd, v61
	v_pack_b32_f16 v64, v61, v61
	v_add_f16_e32 v70, v70, v35
	v_bfi_b32 v88, 0xffff, v7, v65
	v_mul_f16_e32 v61, 0x3722, v61
	v_mul_f16_e32 v90, 0xbb29, v48
	;; [unrolled: 1-line block ×3, first 2 shown]
	v_add_f16_e32 v70, v70, v30
	v_pack_b32_f16 v73, v62, v62
	v_pk_mul_f16 v79, 0x3722b8d2, v60 op_sel_hi:[1,0]
	v_mul_f16_e32 v62, 0xb8d2, v62
	v_mul_f16_e32 v91, 0xba62, v46
	v_add_f16_e32 v70, v70, v31
	v_perm_b32 v65, v61, v65, 0x5040100
	v_perm_b32 v69, v33, v33, 0x7060302
	v_mul_f16_e32 v71, 0xbacd, v60
	v_pack_b32_f16 v77, v60, v60
	v_add_f16_e32 v70, v70, v29
	v_pk_add_f16 v92, v57, v79
	v_mul_f16_e32 v60, 0xbbdd, v60
	v_pk_mul_f16 v82, 0x2de8bbdd, v51 op_sel_hi:[1,0]
	v_pk_mul_f16 v83, 0xb461bacd, v50 op_sel_hi:[1,0]
	v_add_f16_e32 v70, v70, v28
	v_bfi_b32 v92, 0xffff, v36, v92
	v_pk_mul_f16 v85, 0xb8d2b461, v49 op_sel_hi:[1,0]
	v_fmamk_f16 v68, v48, 0xb1e1, v63
	v_fmamk_f16 v72, v46, 0x35c8, v67
	v_add_f16_e32 v70, v70, v27
	v_pack_b32_f16 v66, v48, v48
	v_fmamk_f16 v75, v47, 0xb836, v71
	v_add_f16_sdwa v68, v33, v68 dst_sel:DWORD dst_unused:UNUSED_PAD src0_sel:WORD_1 src1_sel:DWORD
	v_pk_mul_f16 v86, 0xbacd3722, v42 op_sel_hi:[1,0]
	v_bfi_b32 v70, 0xffff, v70, v59
	v_perm_b32 v59, v90, v59, 0x5040100
	v_pack_b32_f16 v76, v46, v46
	v_add_f16_e32 v68, v68, v72
	v_mul_f16_e32 v72, 0x39e9, v51
	v_pk_add_f16 v70, v70, v88
	v_pk_add_f16 v88, v58, v74
	;; [unrolled: 1-line block ×3, first 2 shown]
	v_perm_b32 v58, v91, v58, 0x5040100
	v_perm_b32 v65, v62, v74, 0x5040100
	v_pk_add_f16 v70, v70, v33
	v_bfi_b32 v88, 0xffff, v32, v88
	v_mul_f16_e32 v74, 0xb461, v51
	v_pk_add_f16 v59, v69, v59
	v_pk_add_f16 v58, v58, v65
	v_perm_b32 v65, v60, v79, 0x5040100
	v_pk_add_f16 v70, v88, v70
	v_mul_f16_e32 v88, 0x31e1, v47
	v_mul_f16_e32 v79, 0x3bb2, v45
	v_pk_add_f16 v58, v59, v58
	v_mul_f16_e32 v59, 0x39e9, v50
	v_pk_add_f16 v70, v92, v70
	v_perm_b32 v57, v88, v57, 0x5040100
	v_pk_add_f16 v92, v56, v82
	v_perm_b32 v56, v79, v56, 0x5040100
	v_perm_b32 v82, v74, v82, 0x5040100
	v_add_f16_e32 v68, v68, v75
	v_pk_add_f16 v57, v57, v65
	v_bfi_b32 v92, 0xffff, v37, v92
	v_pk_add_f16 v65, v55, v83
	v_pk_add_f16 v56, v56, v82
	v_mul_f16_e32 v82, 0xb5c8, v2
	v_pk_add_f16 v57, v58, v57
	v_pk_add_f16 v70, v92, v70
	v_mul_f16_e32 v92, 0x3964, v43
	v_bfi_b32 v65, 0xffff, v38, v65
	v_mul_f16_e32 v58, 0x3b76, v49
	v_pk_add_f16 v56, v57, v56
	v_pk_add_f16 v57, v54, v85
	v_perm_b32 v55, v92, v55, 0x5040100
	v_perm_b32 v83, v59, v83, 0x5040100
	v_pk_add_f16 v65, v65, v70
	v_mul_f16_e32 v70, 0x2de8, v42
	v_bfi_b32 v57, 0xffff, v39, v57
	v_perm_b32 v54, v82, v54, 0x5040100
	v_pk_add_f16 v55, v55, v83
	v_perm_b32 v83, v58, v85, 0x5040100
	v_mul_f16_e32 v85, 0xbbf7, v1
	v_pk_add_f16 v57, v57, v65
	v_pk_mul_f16 v65, 0xb4612de8, v64
	v_fmamk_f16 v75, v45, 0x3964, v72
	v_mul_f16_e32 v78, 0xb8d2, v50
	v_pk_add_f16 v54, v54, v83
	v_pk_add_f16 v83, v53, v86
	v_perm_b32 v53, v85, v53, 0x5040100
	v_perm_b32 v86, v70, v86, 0x5040100
	v_pk_fma_f16 v94, 0xbbb2bbf7, v66, v65
	v_pk_mul_f16 v95, 0xbacdbbdd, v73
	v_pack_b32_f16 v80, v47, v47
	v_add_f16_e32 v68, v68, v75
	v_fmamk_f16 v75, v43, 0xba62, v78
	v_mul_f16_e32 v81, 0x3722, v49
	v_pk_mul_f16 v89, 0xbbdd3b76, v44 op_sel_hi:[1,0]
	v_pk_add_f16 v55, v56, v55
	v_mul_f16_e32 v56, 0xbacd, v44
	v_mul_f16_e32 v93, 0xb836, v0
	v_bfi_b32 v83, 0xffff, v40, v83
	v_pk_add_f16 v53, v53, v86
	v_pk_add_f16 v86, v69, v94
	v_pk_fma_f16 v94, 0x3836b1e1, v76, v95
	v_pk_mul_f16 v96, 0x39e9b461, v77
	v_pack_b32_f16 v51, v51, v51
	v_add_f16_e32 v68, v68, v75
	v_fmamk_f16 v75, v2, 0x3b29, v81
	v_mul_f16_e32 v84, 0xb461, v42
	v_pk_add_f16 v54, v55, v54
	v_pk_add_f16 v55, v52, v89
	v_perm_b32 v52, v93, v52, 0x5040100
	v_perm_b32 v89, v56, v89, 0x5040100
	v_pk_add_f16 v57, v83, v57
	v_pk_add_f16 v83, v86, v94
	v_pk_fma_f16 v86, 0x39643bb2, v80, v96
	v_pack_b32_f16 v94, v45, v45
	v_pk_mul_f16 v97, 0x37223b76, v51
	v_pack_b32_f16 v98, v50, v50
	v_add_f16_e32 v68, v68, v75
	v_fmamk_f16 v75, v1, 0xbbb2, v84
	v_mul_f16_e32 v87, 0x2de8, v44
	v_pk_add_f16 v50, v54, v53
	v_pk_add_f16 v53, v83, v86
	v_pk_fma_f16 v54, 0xbb2935c8, v94, v97
	v_pack_b32_f16 v83, v43, v43
	v_pk_mul_f16 v86, 0xbbdd3722, v98
	v_pk_add_f16 v52, v52, v89
	v_pack_b32_f16 v89, v49, v49
	v_add_f16_e32 v68, v68, v75
	v_fmamk_f16 v75, v0, 0x3bf7, v87
	v_pk_add_f16 v49, v53, v54
	v_pk_mul_f16 v53, 0xbacdb8d2, v64
	v_pk_fma_f16 v54, 0xb1e1bb29, v83, v86
	v_pack_b32_f16 v99, v2, v2
	v_pk_mul_f16 v100, 0x2de8bacd, v89
	v_bfi_b32 v55, 0xffff, v41, v55
	v_add_f16_e32 v68, v68, v75
	v_pk_fma_f16 v75, 0xb836ba62, v66, v53
	v_pk_mul_f16 v101, 0x3722b461, v73
	v_pk_add_f16 v54, v49, v54
	v_pk_fma_f16 v102, 0x3bf7b836, v99, v100
	v_pk_add_f16 v49, v55, v57
	v_pk_add_f16 v55, v69, v75
	v_pk_fma_f16 v57, 0x3b293bb2, v76, v101
	v_pk_add_f16 v50, v50, v52
	v_pk_add_f16 v52, v54, v102
	v_mul_f16_e32 v48, 0xb1e1, v48
	v_pk_mul_f16 v54, 0xb836ba62, v66
	v_pk_add_f16 v55, v55, v57
	v_mul_f16_e32 v46, 0x35c8, v46
	v_pk_mul_f16 v57, 0x3b293bb2, v76
	v_bfi_b32 v53, 0xffff, v63, v53
	v_bfi_b32 v48, 0xffff, v48, v54
	;; [unrolled: 1-line block ×3, first 2 shown]
	v_pk_mul_f16 v63, 0x2de83b76, v77
	v_bfi_b32 v46, 0xffff, v46, v57
	v_mul_f16_e32 v47, 0xb836, v47
	v_pk_mul_f16 v57, 0xbbf7b5c8, v80
	v_pk_add_f16 v48, v53, v48 neg_lo:[0,1] neg_hi:[0,1]
	v_pk_fma_f16 v53, 0xbbf7b5c8, v80, v63
	v_pk_add_f16 v46, v54, v46 neg_lo:[0,1] neg_hi:[0,1]
	v_bfi_b32 v54, 0xffff, v71, v63
	v_bfi_b32 v47, 0xffff, v47, v57
	v_pk_add_f16 v48, v69, v48
	v_pk_mul_f16 v63, 0xb8d2bacd, v51
	v_mul_f16_e32 v45, 0x3964, v45
	v_pk_mul_f16 v57, 0x3a62b836, v94
	v_pk_add_f16 v53, v55, v53
	v_pk_add_f16 v46, v48, v46
	v_pk_add_f16 v47, v54, v47 neg_lo:[0,1] neg_hi:[0,1]
	v_pk_fma_f16 v48, 0x3a62b836, v94, v63
	v_pk_mul_f16 v54, 0x3b762de8, v98
	v_bfi_b32 v45, 0xffff, v45, v57
	v_bfi_b32 v55, 0xffff, v72, v63
	v_mul_f16_e32 v43, 0xba62, v43
	v_pk_mul_f16 v57, 0xb5c83bf7, v83
	v_pk_add_f16 v48, v53, v48
	v_pk_fma_f16 v53, 0xb5c83bf7, v83, v54
	v_pk_add_f16 v46, v46, v47
	v_pk_add_f16 v45, v55, v45 neg_lo:[0,1] neg_hi:[0,1]
	v_bfi_b32 v43, 0xffff, v43, v57
	v_bfi_b32 v47, 0xffff, v78, v54
	v_pk_add_f16 v48, v48, v53
	v_pk_mul_f16 v53, 0xbbdd39e9, v89
	v_mul_f16_e32 v2, 0x3b29, v2
	v_pk_mul_f16 v54, 0xb1e1b964, v99
	v_pk_add_f16 v45, v46, v45
	v_pk_add_f16 v43, v47, v43 neg_lo:[0,1] neg_hi:[0,1]
	v_bfi_b32 v46, 0xffff, v81, v53
	v_pk_fma_f16 v47, 0xb1e1b964, v99, v53
	v_pack_b32_f16 v53, v1, v1
	v_pack_b32_f16 v42, v42, v42
	v_bfi_b32 v2, 0xffff, v2, v54
	v_mul_f16_e32 v1, 0xbbb2, v1
	v_pk_add_f16 v47, v48, v47
	v_pk_mul_f16 v48, 0x3964b1e1, v53
	v_pk_add_f16 v43, v45, v43
	v_pk_mul_f16 v45, 0x39e9bbdd, v42
	v_pk_add_f16 v2, v46, v2 neg_lo:[0,1] neg_hi:[0,1]
	v_pk_mul_f16 v46, 0x3b76b8d2, v42
	v_bfi_b32 v1, 0xffff, v1, v48
	v_pack_b32_f16 v48, v0, v0
	v_bfi_b32 v54, 0xffff, v84, v45
	v_pk_fma_f16 v45, 0x3964b1e1, v53, v45
	v_pk_add_f16 v2, v43, v2
	v_pk_fma_f16 v43, 0xb5c83a62, v53, v46
	v_mul_f16_e32 v0, 0x3bf7, v0
	v_pk_add_f16 v1, v54, v1 neg_lo:[0,1] neg_hi:[0,1]
	v_pk_add_f16 v45, v47, v45
	v_pk_mul_f16 v47, 0xbbb2bbf7, v66
	v_pk_add_f16 v43, v52, v43
	v_pk_mul_f16 v52, 0xbbb23b29, v48
	;; [unrolled: 2-line block ×3, first 2 shown]
	v_pk_mul_f16 v55, 0x3bb23a62, v66
	v_pack_b32_f16 v57, v65, v61
	v_pack_b32_f16 v47, v47, v90
	v_bfi_b32 v0, 0xffff, v0, v52
	v_pk_mul_f16 v52, 0x39643bb2, v80
	v_pk_mul_f16 v65, 0xb836bbb2, v76
	v_pk_fma_f16 v55, 0xb461b8d2, v64, v55
	v_pk_add_f16 v47, v57, v47 neg_lo:[0,1] neg_hi:[0,1]
	v_pack_b32_f16 v62, v95, v62
	v_pack_b32_f16 v2, v2, v91
	v_pk_mul_f16 v61, 0xbb2935c8, v94
	v_pk_fma_f16 v65, 0xbacdb461, v73, v65
	v_pk_add_f16 v55, v69, v55
	v_pk_add_f16 v47, v69, v47
	v_pk_mul_f16 v73, 0xb96435c8, v80
	v_pk_add_f16 v2, v62, v2 neg_lo:[0,1] neg_hi:[0,1]
	v_pack_b32_f16 v60, v96, v60
	v_pack_b32_f16 v52, v52, v88
	v_pk_mul_f16 v63, 0xb1e1bb29, v83
	v_pk_add_f16 v55, v55, v65
	v_pk_fma_f16 v62, 0x39e93b76, v77, v73
	v_pk_mul_f16 v65, 0x3b293836, v94
	v_pk_add_f16 v2, v47, v2
	v_pk_add_f16 v47, v60, v52 neg_lo:[0,1] neg_hi:[0,1]
	v_pack_b32_f16 v52, v97, v74
	v_pack_b32_f16 v60, v61, v79
	v_pk_mul_f16 v64, 0x3bf7b836, v99
	v_pk_add_f16 v55, v55, v62
	v_pk_fma_f16 v51, 0x3722bacd, v51, v65
	v_pk_mul_f16 v61, 0x31e1bbf7, v83
	v_pk_add_f16 v2, v2, v47
	v_pk_add_f16 v47, v52, v60 neg_lo:[0,1] neg_hi:[0,1]
	v_pack_b32_f16 v52, v86, v59
	v_pack_b32_f16 v59, v63, v92
	;; [unrolled: 1-line block ×3, first 2 shown]
	v_pk_mul_f16 v57, 0xb5c83a62, v53
	v_pk_add_f16 v51, v55, v51
	v_pk_fma_f16 v55, 0xbbdd2de8, v98, v61
	v_pk_mul_f16 v60, 0xbbf73964, v99
	v_pk_add_f16 v2, v2, v47
	v_pk_add_f16 v47, v52, v59 neg_lo:[0,1] neg_hi:[0,1]
	v_pack_b32_f16 v52, v100, v58
	v_pack_b32_f16 v58, v64, v82
	v_pk_mul_f16 v54, 0xb4613722, v44
	v_pk_mul_f16 v66, 0xb8d239e9, v44
	;; [unrolled: 1-line block ×3, first 2 shown]
	v_pk_add_f16 v51, v51, v55
	v_pk_fma_f16 v55, 0x2de839e9, v89, v60
	v_pk_mul_f16 v53, 0x35c831e1, v53
	v_pk_add_f16 v2, v2, v47
	v_pk_add_f16 v47, v52, v58 neg_lo:[0,1] neg_hi:[0,1]
	v_pack_b32_f16 v46, v46, v70
	v_pack_b32_f16 v52, v57, v85
	v_pk_fma_f16 v71, 0xba623964, v48, v66
	v_bfi_b32 v72, 0xffff, v87, v54
	v_pk_fma_f16 v54, 0xbbb23b29, v48, v54
	v_pk_add_f16 v51, v51, v55
	v_pk_fma_f16 v42, 0x3b76bbdd, v42, v53
	v_pk_mul_f16 v48, 0x3a62bb29, v48
	v_pk_add_f16 v2, v2, v47
	v_pk_add_f16 v46, v46, v52 neg_lo:[0,1] neg_hi:[0,1]
	v_pack_b32_f16 v47, v66, v56
	v_pack_b32_f16 v52, v67, v93
	v_pk_add_f16 v0, v72, v0 neg_lo:[0,1] neg_hi:[0,1]
	v_pk_add_f16 v42, v51, v42
	v_pk_fma_f16 v44, 0xb8d23722, v44, v48
	v_pk_add_f16 v2, v2, v46
	v_pk_add_f16 v46, v47, v52 neg_lo:[0,1] neg_hi:[0,1]
	v_mad_u32_u24 v69, v10, 34, 0
	v_pk_add_f16 v51, v43, v71
	v_pk_add_f16 v52, v45, v54
	v_pk_add_f16 v0, v1, v0
	v_pk_add_f16 v1, v42, v44
	v_pk_add_f16 v2, v2, v46
	ds_write_b128 v69, v[49:52]
	ds_write_b16 v69, v68 offset:16
	ds_write_b128 v69, v[0:3] offset:18
.LBB0_13:
	s_or_b32 exec_lo, exec_lo, s1
	v_sub_f16_e32 v48, v34, v41
	v_add_f16_e32 v49, v26, v4
	v_sub_f16_e32 v47, v35, v40
	v_add_f16_e32 v46, v25, v5
	v_sub_f16_e32 v52, v30, v39
	v_pk_mul_f16 v1, 0xb5c8b964, v48 op_sel_hi:[1,0]
	v_add_f16_e32 v45, v24, v6
	v_pk_mul_f16 v41, 0xb964bbf7, v47 op_sel_hi:[1,0]
	v_sub_f16_e32 v50, v31, v38
	v_pk_mul_f16 v42, 0xbb29ba62, v52 op_sel_hi:[1,0]
	v_pk_fma_f16 v0, 0x3b7639e9, v49, v1 op_sel_hi:[1,0,1]
	v_add_f16_e32 v51, v23, v11
	v_pk_fma_f16 v2, 0x39e92de8, v46, v41 op_sel_hi:[1,0,1]
	v_sub_f16_e32 v55, v29, v37
	v_sub_f16_e32 v58, v28, v36
	v_pk_add_f16 v0, v20, v0 op_sel_hi:[0,1]
	v_pk_mul_f16 v43, 0xbbf7b1e1, v50 op_sel_hi:[1,0]
	v_pk_fma_f16 v28, 0x3722b8d2, v45, v42 op_sel_hi:[1,0,1]
	v_add_f16_e32 v54, v22, v14
	v_pk_mul_f16 v44, 0xbbb23836, v55 op_sel_hi:[1,0]
	v_pk_add_f16 v0, v0, v2
	v_pk_fma_f16 v2, 0x2de8bbdd, v51, v43 op_sel_hi:[1,0,1]
	v_sub_f16_e32 v61, v7, v33
	v_sub_f16_e32 v60, v27, v32
	v_pk_fma_f16 v7, 0xb461bacd, v54, v44 op_sel_hi:[1,0,1]
	v_pk_add_f16 v0, v0, v28
	s_waitcnt lgkmcnt(0)
	s_barrier
	buffer_gl0_inv
	v_add_f16_e32 v57, v21, v15
	v_pk_add_f16 v2, v0, v2
	v_lshl_add_u32 v0, v10, 1, 0
	v_pk_mul_f16 v53, 0xba623bb2, v58 op_sel_hi:[1,0]
	v_add_f16_e32 v59, v19, v17
	v_pk_mul_f16 v56, 0xb8363b29, v60 op_sel_hi:[1,0]
	v_pk_add_f16 v7, v2, v7
	ds_read_u16 v32, v0 offset:1224
	ds_read_u16 v31, v0 offset:1428
	ds_read_u16 v30, v0
	ds_read_u16 v29, v0 offset:204
	ds_read_u16 v28, v0 offset:408
	;; [unrolled: 1-line block ×12, first 2 shown]
	v_pk_fma_f16 v62, 0xb8d2b461, v57, v53 op_sel_hi:[1,0,1]
	v_add_f16_e32 v63, v16, v18
	v_pk_fma_f16 v64, 0xbacd3722, v59, v56 op_sel_hi:[1,0,1]
	s_waitcnt lgkmcnt(0)
	s_barrier
	v_pk_add_f16 v7, v7, v62
	v_pk_mul_f16 v62, 0xb1e135c8, v61 op_sel_hi:[1,0]
	buffer_gl0_inv
	v_pk_add_f16 v7, v7, v64
	v_pk_fma_f16 v64, 0xbbdd3b76, v63, v62 op_sel_hi:[1,0,1]
	v_pk_add_f16 v7, v7, v64
	s_and_saveexec_b32 s1, s0
	s_cbranch_execz .LBB0_15
; %bb.14:
	v_add_f16_e32 v26, v20, v26
	v_pack_b32_f16 v64, v49, v49
	v_pk_mul_f16 v49, 0x3b7639e9, v49 op_sel_hi:[1,0]
	v_pack_b32_f16 v48, v48, v48
	v_perm_b32 v20, v20, v20, 0x5040100
	v_add_f16_e32 v25, v26, v25
	v_pack_b32_f16 v26, v46, v46
	v_pk_mul_f16 v46, 0x39e92de8, v46 op_sel_hi:[1,0]
	v_pk_add_f16 v1, v49, v1 neg_lo:[0,1] neg_hi:[0,1]
	v_pack_b32_f16 v47, v47, v47
	v_add_f16_e32 v24, v25, v24
	v_pk_mul_f16 v25, 0x3722b8d2, v45 op_sel_hi:[1,0]
	v_pk_add_f16 v41, v46, v41 neg_lo:[0,1] neg_hi:[0,1]
	v_pk_add_f16 v1, v20, v1
	v_pack_b32_f16 v65, v45, v45
	v_add_f16_e32 v23, v24, v23
	v_pack_b32_f16 v24, v50, v50
	v_pack_b32_f16 v50, v54, v54
	v_pk_mul_f16 v54, 0xb461bacd, v54 op_sel_hi:[1,0]
	v_pk_add_f16 v25, v25, v42 neg_lo:[0,1] neg_hi:[0,1]
	v_add_f16_e32 v22, v23, v22
	v_pack_b32_f16 v45, v52, v52
	v_pack_b32_f16 v52, v51, v51
	v_pk_add_f16 v42, v54, v44 neg_lo:[0,1] neg_hi:[0,1]
	v_pk_mul_f16 v44, 0xbbf7bb29, v48
	v_add_f16_e32 v21, v22, v21
	v_pk_mul_f16 v51, 0x2de8bbdd, v51 op_sel_hi:[1,0]
	v_pk_add_f16 v1, v1, v41
	v_pk_mul_f16 v41, 0x3bb231e1, v45
	v_pk_fma_f16 v46, 0x2de83722, v64, v44 neg_lo:[0,0,1] neg_hi:[0,0,1]
	v_add_f16_e32 v19, v21, v19
	v_pack_b32_f16 v55, v55, v55
	v_pk_add_f16 v1, v1, v25
	v_pack_b32_f16 v23, v57, v57
	v_pk_add_f16 v46, v20, v46
	v_add_f16_e32 v16, v19, v16
	v_pk_add_f16 v19, v51, v43 neg_lo:[0,1] neg_hi:[0,1]
	v_pk_mul_f16 v57, 0xb8d2b461, v57 op_sel_hi:[1,0]
	v_pack_b32_f16 v58, v58, v58
	v_pk_mul_f16 v22, 0xbacd3722, v59 op_sel_hi:[1,0]
	v_add_f16_e32 v16, v16, v18
	v_pk_add_f16 v1, v1, v19
	v_pk_fma_f16 v19, 0xb461bbdd, v65, v41 neg_lo:[0,0,1] neg_hi:[0,0,1]
	v_pk_add_f16 v43, v57, v53 neg_lo:[0,1] neg_hi:[0,1]
	v_pack_b32_f16 v66, v59, v59
	v_add_f16_e32 v16, v17, v16
	v_pk_mul_f16 v17, 0xb1e1ba62, v47
	v_pk_add_f16 v1, v1, v42
	v_pack_b32_f16 v59, v60, v60
	v_pack_b32_f16 v60, v63, v63
	v_add_f16_e32 v15, v15, v16
	v_pk_fma_f16 v25, 0xbbddb8d2, v26, v17 neg_lo:[0,0,1] neg_hi:[0,0,1]
	v_pk_mul_f16 v16, 0x35c83bb2, v24
	v_pk_mul_f16 v63, 0xbbdd3b76, v63 op_sel_hi:[1,0]
	v_pk_add_f16 v18, v22, v56 neg_lo:[0,1] neg_hi:[0,1]
	v_add_f16_e32 v14, v14, v15
	v_pk_add_f16 v25, v46, v25
	v_pk_mul_f16 v15, 0xbb293964, v55
	v_pk_fma_f16 v42, 0x3b76b461, v52, v16 neg_lo:[0,0,1] neg_hi:[0,0,1]
	v_pk_add_f16 v1, v1, v43
	v_add_f16_e32 v11, v11, v14
	v_pk_add_f16 v19, v25, v19
	v_pk_mul_f16 v14, 0xb836b5c8, v58
	v_pk_fma_f16 v25, 0x372239e9, v50, v15 neg_lo:[0,0,1] neg_hi:[0,0,1]
	v_pk_add_f16 v22, v63, v62 neg_lo:[0,1] neg_hi:[0,1]
	v_add_f16_e32 v6, v6, v11
	v_pk_add_f16 v19, v19, v42
	v_pk_mul_f16 v11, 0xba62bbb2, v48
	v_pk_add_f16 v1, v1, v18
	v_pk_fma_f16 v18, 0xbacd3b76, v23, v14 neg_lo:[0,0,1] neg_hi:[0,0,1]
	v_add_f16_e32 v5, v5, v6
	v_pk_fma_f16 v6, 0x2de83722, v64, v44
	v_pk_add_f16 v19, v19, v25
	v_pk_add_f16 v1, v1, v22
	v_pack_b32_f16 v21, v61, v61
	v_add_f16_e32 v22, v4, v5
	v_pk_add_f16 v4, v20, v6
	v_pk_fma_f16 v5, 0xbbddb8d2, v26, v17
	v_pk_add_f16 v6, v19, v18
	v_pk_fma_f16 v17, 0xb8d2b461, v64, v11 neg_lo:[0,0,1] neg_hi:[0,0,1]
	v_pk_mul_f16 v18, 0x3bb23836, v47
	v_pk_mul_f16 v19, 0x3a62bbf7, v59
	v_pk_add_f16 v4, v4, v5
	v_pk_fma_f16 v5, 0xb461bbdd, v65, v41
	v_pk_add_f16 v17, v20, v17
	v_pk_fma_f16 v25, 0xb461bacd, v26, v18 neg_lo:[0,0,1] neg_hi:[0,0,1]
	v_pk_mul_f16 v41, 0xb5c83964, v45
	v_pk_fma_f16 v42, 0xb8d22de8, v66, v19 neg_lo:[0,0,1] neg_hi:[0,0,1]
	v_pk_add_f16 v4, v4, v5
	v_pk_fma_f16 v5, 0x3b76b461, v52, v16
	v_pk_add_f16 v16, v17, v25
	v_pk_fma_f16 v17, 0x3b7639e9, v65, v41 neg_lo:[0,0,1] neg_hi:[0,0,1]
	v_pk_mul_f16 v25, 0xb836bb29, v24
	v_pk_fma_f16 v11, 0xb8d2b461, v64, v11
	v_pk_add_f16 v4, v4, v5
	v_pk_fma_f16 v5, 0x372239e9, v50, v15
	v_pk_add_f16 v15, v16, v17
	v_pk_fma_f16 v16, 0xbacd3722, v52, v25 neg_lo:[0,0,1] neg_hi:[0,0,1]
	v_pk_mul_f16 v17, 0x3bf7b1e1, v55
	v_pk_add_f16 v6, v6, v42
	v_pk_add_f16 v4, v4, v5
	v_pk_fma_f16 v5, 0xbacd3b76, v23, v14
	v_pk_add_f16 v14, v15, v16
	v_pk_fma_f16 v15, 0x2de8bbdd, v50, v17 neg_lo:[0,0,1] neg_hi:[0,0,1]
	v_pk_mul_f16 v16, 0xb9643bf7, v58
	v_pk_mul_f16 v42, 0x3964b836, v21
	v_pk_add_f16 v4, v4, v5
	v_pk_fma_f16 v5, 0xb8d22de8, v66, v19
	v_pk_add_f16 v14, v14, v15
	v_pk_fma_f16 v19, 0x39e92de8, v23, v16 neg_lo:[0,0,1] neg_hi:[0,0,1]
	v_pk_add_f16 v11, v20, v11
	v_pk_fma_f16 v43, 0x39e9bacd, v60, v42 neg_lo:[0,0,1] neg_hi:[0,0,1]
	v_pk_add_f16 v4, v4, v5
	v_pk_mul_f16 v45, 0xb836bbf7, v45
	v_pk_add_f16 v5, v14, v19
	v_pk_fma_f16 v14, 0xb461bacd, v26, v18
	v_pk_mul_f16 v19, 0xb1e1b836, v48
	v_pk_fma_f16 v18, 0x39e9bacd, v60, v42
	v_pk_mul_f16 v42, 0x35c83b29, v47
	v_pk_fma_f16 v25, 0xbacd3722, v52, v25
	v_pk_add_f16 v11, v11, v14
	v_pk_fma_f16 v14, 0x3b7639e9, v65, v41
	v_pk_fma_f16 v41, 0xbbddbacd, v64, v19 neg_lo:[0,0,1] neg_hi:[0,0,1]
	v_pk_fma_f16 v19, 0xbbddbacd, v64, v19
	v_pk_mul_f16 v24, 0x39643a62, v24
	v_pk_mul_f16 v44, 0xb1e1b5c8, v59
	v_pk_add_f16 v11, v11, v14
	v_pk_add_f16 v14, v20, v41
	v_pk_fma_f16 v41, 0x3b763722, v26, v42 neg_lo:[0,0,1] neg_hi:[0,0,1]
	v_pk_add_f16 v19, v20, v19
	v_pk_fma_f16 v20, 0x3b763722, v26, v42
	v_pk_fma_f16 v26, 0xbacd2de8, v65, v45 neg_lo:[0,0,1] neg_hi:[0,0,1]
	v_pk_add_f16 v11, v11, v25
	v_pk_add_f16 v14, v14, v41
	v_pk_fma_f16 v25, 0x39e9b8d2, v52, v24 neg_lo:[0,0,1] neg_hi:[0,0,1]
	v_pk_add_f16 v19, v19, v20
	v_pk_fma_f16 v20, 0xbacd2de8, v65, v45
	v_pk_fma_f16 v17, 0x2de8bbdd, v50, v17
	v_pk_add_f16 v14, v14, v26
	v_pk_mul_f16 v26, 0xba62b5c8, v55
	v_pk_add_f16 v15, v6, v43
	v_pk_add_f16 v19, v19, v20
	v_pk_fma_f16 v20, 0x39e9b8d2, v52, v24
	v_pk_add_f16 v14, v14, v25
	v_pk_fma_f16 v24, 0xb8d23b76, v50, v26 neg_lo:[0,0,1] neg_hi:[0,0,1]
	v_pk_mul_f16 v25, 0x3b29b1e1, v58
	v_pk_fma_f16 v6, 0xbbdd3b76, v66, v44 neg_lo:[0,0,1] neg_hi:[0,0,1]
	v_pk_add_f16 v19, v19, v20
	v_pk_fma_f16 v20, 0xb8d23b76, v50, v26
	v_pk_add_f16 v11, v11, v17
	v_pk_fma_f16 v16, 0x39e92de8, v23, v16
	v_pk_add_f16 v14, v14, v24
	v_pk_fma_f16 v17, 0x3722bbdd, v23, v25 neg_lo:[0,0,1] neg_hi:[0,0,1]
	v_pk_add_f16 v19, v19, v20
	v_pk_fma_f16 v20, 0x3722bbdd, v23, v25
	v_pk_mul_f16 v23, 0xbbb23964, v59
	v_pk_add_f16 v5, v5, v6
	v_pk_mul_f16 v6, 0x3b29ba62, v21
	v_pk_add_f16 v11, v11, v16
	v_pk_fma_f16 v16, 0xbbdd3b76, v66, v44
	v_pk_add_f16 v14, v14, v17
	v_pk_add_f16 v17, v19, v20
	v_pk_fma_f16 v19, 0xb46139e9, v66, v23
	v_pk_mul_f16 v20, 0x3bf7bbb2, v21
	v_pk_fma_f16 v21, 0xb46139e9, v66, v23 neg_lo:[0,0,1] neg_hi:[0,0,1]
	v_pk_fma_f16 v43, 0x3722b8d2, v60, v6 neg_lo:[0,0,1] neg_hi:[0,0,1]
	v_pk_add_f16 v11, v11, v16
	v_pk_fma_f16 v6, 0x3722b8d2, v60, v6
	v_pk_add_f16 v17, v17, v19
	v_pk_fma_f16 v19, 0x2de8b461, v60, v20
	v_pk_add_f16 v14, v14, v21
	v_pk_fma_f16 v20, 0x2de8b461, v60, v20 neg_lo:[0,0,1] neg_hi:[0,0,1]
	v_pk_add_f16 v18, v4, v18
	v_pk_add_f16 v16, v5, v43
	;; [unrolled: 1-line block ×4, first 2 shown]
	v_lshl_add_u32 v11, v10, 5, v0
	v_pk_add_f16 v17, v14, v20
	v_alignbit_b32 v14, v1, v1, 16
	v_alignbit_b32 v4, v4, v4, 16
	v_alignbit_b32 v5, v5, v5, 16
	v_alignbit_b32 v6, v18, v18, 16
	ds_write_b16 v11, v22
	ds_write_b128 v11, v[14:17] offset:2
	ds_write_b128 v11, v[4:7] offset:18
.LBB0_15:
	s_or_b32 exec_lo, exec_lo, s1
	v_and_b32_e32 v1, 0xff, v10
	v_add_nc_u32_e32 v5, 0x198, v10
	v_mov_b32_e32 v6, 0xf0f1
	v_add_nc_u32_e32 v4, 0x66, v10
	v_add_nc_u32_e32 v16, 0x132, v10
	v_mul_lo_u16 v11, 0xf1, v1
	v_add_nc_u32_e32 v1, 0xcc, v10
	v_mul_u32_u24_sdwa v14, v5, v6 dst_sel:DWORD dst_unused:UNUSED_PAD src0_sel:WORD_0 src1_sel:DWORD
	v_and_b32_e32 v19, 0xff, v4
	v_mov_b32_e32 v21, 3
	v_lshrrev_b16 v11, 12, v11
	s_load_dwordx2 s[2:3], s[2:3], 0x0
	v_lshrrev_b32_e32 v20, 20, v14
	v_mul_lo_u16 v15, 0xf1, v19
	s_waitcnt lgkmcnt(0)
	v_mul_lo_u16 v14, v11, 17
	s_barrier
	v_mul_lo_u16 v17, v20, 17
	v_lshrrev_b16 v43, 12, v15
	buffer_gl0_inv
	v_sub_nc_u16 v26, v10, v14
	v_mul_u32_u24_sdwa v14, v1, v6 dst_sel:DWORD dst_unused:UNUSED_PAD src0_sel:WORD_0 src1_sel:DWORD
	v_sub_nc_u16 v44, v5, v17
	v_mul_u32_u24_sdwa v6, v16, v6 dst_sel:DWORD dst_unused:UNUSED_PAD src0_sel:WORD_0 src1_sel:DWORD
	v_mul_lo_u16 v17, v43, 17
	v_lshlrev_b32_sdwa v5, v21, v26 dst_sel:DWORD dst_unused:UNUSED_PAD src0_sel:DWORD src1_sel:BYTE_0
	v_lshrrev_b32_e32 v45, 20, v14
	v_lshlrev_b32_sdwa v18, v21, v44 dst_sel:DWORD dst_unused:UNUSED_PAD src0_sel:DWORD src1_sel:WORD_0
	v_lshrrev_b32_e32 v6, 20, v6
	v_sub_nc_u16 v46, v4, v17
	global_load_dwordx2 v[14:15], v5, s[12:13]
	v_mov_b32_e32 v50, 0x66
	global_load_dwordx2 v[17:18], v18, s[12:13]
	v_mul_lo_u16 v5, v45, 17
	v_mul_lo_u16 v22, v6, 17
	v_mov_b32_e32 v52, 1
	v_mul_u32_u24_sdwa v11, v11, v50 dst_sel:DWORD dst_unused:UNUSED_PAD src0_sel:WORD_0 src1_sel:DWORD
	v_mul_u32_u24_e32 v45, 0x66, v45
	v_sub_nc_u16 v47, v1, v5
	v_lshlrev_b32_sdwa v5, v21, v46 dst_sel:DWORD dst_unused:UNUSED_PAD src0_sel:DWORD src1_sel:BYTE_0
	v_sub_nc_u16 v48, v16, v22
	v_mul_u32_u24_e32 v20, 0x66, v20
	v_mul_u32_u24_sdwa v50, v43, v50 dst_sel:DWORD dst_unused:UNUSED_PAD src0_sel:WORD_0 src1_sel:DWORD
	v_lshlrev_b32_sdwa v16, v21, v47 dst_sel:DWORD dst_unused:UNUSED_PAD src0_sel:DWORD src1_sel:WORD_0
	global_load_dwordx2 v[22:23], v5, s[12:13]
	v_lshlrev_b32_sdwa v5, v21, v48 dst_sel:DWORD dst_unused:UNUSED_PAD src0_sel:DWORD src1_sel:WORD_0
	s_clause 0x1
	global_load_dwordx2 v[24:25], v16, s[12:13]
	global_load_dwordx2 v[59:60], v5, s[12:13]
	ds_read_u16 v56, v0 offset:1224
	ds_read_u16 v61, v0 offset:1428
	ds_read_u16 v42, v0
	ds_read_u16 v41, v0 offset:204
	ds_read_u16 v21, v0 offset:408
	;; [unrolled: 1-line block ×12, first 2 shown]
	v_lshlrev_b32_sdwa v26, v52, v26 dst_sel:DWORD dst_unused:UNUSED_PAD src0_sel:DWORD src1_sel:BYTE_0
	v_lshlrev_b32_sdwa v43, v52, v47 dst_sel:DWORD dst_unused:UNUSED_PAD src0_sel:DWORD src1_sel:WORD_0
	v_lshlrev_b32_sdwa v47, v52, v48 dst_sel:DWORD dst_unused:UNUSED_PAD src0_sel:DWORD src1_sel:WORD_0
	;; [unrolled: 1-line block ×3, first 2 shown]
	v_mul_u32_u24_e32 v6, 0x66, v6
	v_lshlrev_b32_sdwa v52, v52, v46 dst_sel:DWORD dst_unused:UNUSED_PAD src0_sel:DWORD src1_sel:BYTE_0
	v_add3_u32 v46, 0, v11, v26
	v_add3_u32 v45, 0, v45, v43
	;; [unrolled: 1-line block ×5, first 2 shown]
	s_waitcnt vmcnt(0) lgkmcnt(0)
	s_barrier
	buffer_gl0_inv
	v_cmp_gt_u32_e64 s0, 51, v10
	v_mul_f16_sdwa v54, v49, v14 dst_sel:DWORD dst_unused:UNUSED_PAD src0_sel:DWORD src1_sel:WORD_1
	v_mul_f16_sdwa v11, v39, v14 dst_sel:DWORD dst_unused:UNUSED_PAD src0_sel:DWORD src1_sel:WORD_1
	;; [unrolled: 1-line block ×6, first 2 shown]
	v_fmac_f16_e32 v54, v39, v14
	v_fma_f16 v57, v49, v14, -v11
	v_fmac_f16_e32 v55, v40, v15
	v_fma_f16 v53, v51, v15, -v20
	v_mul_f16_sdwa v26, v38, v17 dst_sel:DWORD dst_unused:UNUSED_PAD src0_sel:DWORD src1_sel:WORD_1
	v_mul_f16_sdwa v67, v37, v18 dst_sel:DWORD dst_unused:UNUSED_PAD src0_sel:DWORD src1_sel:WORD_1
	v_fmac_f16_e32 v6, v38, v17
	v_fmac_f16_e32 v48, v37, v18
	v_mul_f16_sdwa v50, v56, v22 dst_sel:DWORD dst_unused:UNUSED_PAD src0_sel:DWORD src1_sel:WORD_1
	v_mul_f16_sdwa v52, v63, v23 dst_sel:DWORD dst_unused:UNUSED_PAD src0_sel:DWORD src1_sel:WORD_1
	;; [unrolled: 1-line block ×8, first 2 shown]
	v_fmac_f16_e32 v50, v32, v22
	v_fmac_f16_e32 v52, v36, v23
	v_mul_f16_sdwa v15, v31, v24 dst_sel:DWORD dst_unused:UNUSED_PAD src0_sel:DWORD src1_sel:WORD_1
	v_mul_f16_sdwa v20, v35, v25 dst_sel:DWORD dst_unused:UNUSED_PAD src0_sel:DWORD src1_sel:WORD_1
	v_mul_f16_sdwa v68, v33, v59 dst_sel:DWORD dst_unused:UNUSED_PAD src0_sel:DWORD src1_sel:WORD_1
	v_mul_f16_sdwa v69, v34, v60 dst_sel:DWORD dst_unused:UNUSED_PAD src0_sel:DWORD src1_sel:WORD_1
	v_fmac_f16_e32 v49, v31, v24
	v_fmac_f16_e32 v51, v35, v25
	;; [unrolled: 1-line block ×4, first 2 shown]
	v_fma_f16 v36, v63, v23, -v14
	v_add_f16_e32 v14, v54, v55
	v_fma_f16 v38, v66, v17, -v26
	v_fma_f16 v37, v58, v18, -v67
	;; [unrolled: 1-line block ×3, first 2 shown]
	v_add_f16_e32 v18, v6, v48
	v_add_f16_e32 v23, v50, v52
	v_fma_f16 v56, v61, v24, -v15
	v_fma_f16 v35, v64, v25, -v20
	;; [unrolled: 1-line block ×4, first 2 shown]
	v_add_f16_e32 v11, v30, v54
	v_add_f16_e32 v26, v49, v51
	v_add_f16_e32 v59, v39, v40
	v_sub_f16_e32 v15, v57, v53
	v_fmac_f16_e32 v30, -0.5, v14
	v_add_f16_e32 v14, v29, v50
	v_add_f16_e32 v17, v2, v6
	v_sub_f16_e32 v20, v38, v37
	v_sub_f16_e32 v24, v58, v36
	v_fmac_f16_e32 v2, -0.5, v18
	v_fmac_f16_e32 v29, -0.5, v23
	v_add_f16_e32 v22, v11, v55
	v_add_f16_e32 v25, v28, v49
	v_sub_f16_e32 v33, v56, v35
	v_add_f16_e32 v34, v27, v39
	v_sub_f16_e32 v60, v32, v31
	v_fmac_f16_e32 v28, -0.5, v26
	v_fmac_f16_e32 v27, -0.5, v59
	v_fmamk_f16 v18, v15, 0xbaee, v30
	v_fmac_f16_e32 v30, 0x3aee, v15
	v_add_f16_e32 v14, v14, v52
	v_add_f16_e32 v11, v17, v48
	v_fmamk_f16 v17, v20, 0xbaee, v2
	v_fmac_f16_e32 v2, 0x3aee, v20
	v_fmamk_f16 v20, v24, 0xbaee, v29
	v_add_f16_e32 v15, v25, v51
	v_add_f16_e32 v23, v34, v40
	ds_write_b16 v46, v22
	v_fmac_f16_e32 v29, 0x3aee, v24
	v_fmamk_f16 v22, v33, 0xbaee, v28
	v_fmac_f16_e32 v28, 0x3aee, v33
	v_fmamk_f16 v24, v60, 0xbaee, v27
	v_fmac_f16_e32 v27, 0x3aee, v60
	ds_write_b16 v46, v18 offset:34
	ds_write_b16 v46, v30 offset:68
	ds_write_b16 v47, v14
	ds_write_b16 v47, v20 offset:34
	ds_write_b16 v47, v29 offset:68
	ds_write_b16 v45, v15
	;; [unrolled: 3-line block ×4, first 2 shown]
	ds_write_b16 v43, v17 offset:34
	ds_write_b16 v43, v2 offset:68
	s_waitcnt lgkmcnt(0)
	s_barrier
	buffer_gl0_inv
	ds_read_u16 v14, v0
	ds_read_u16 v22, v0 offset:2040
	ds_read_u16 v20, v0 offset:1734
	;; [unrolled: 1-line block ×11, first 2 shown]
                                        ; implicit-def: $vgpr18
	s_and_saveexec_b32 s1, s0
	s_cbranch_execz .LBB0_17
; %bb.16:
	ds_read_u16 v3, v0 offset:1938
	ds_read_u16 v11, v0 offset:408
	;; [unrolled: 1-line block ×5, first 2 shown]
	s_waitcnt lgkmcnt(4)
	ds_read_u16_d16_hi v3, v0 offset:2448
.LBB0_17:
	s_or_b32 exec_lo, exec_lo, s1
	v_add_f16_e32 v33, v57, v53
	v_add_f16_e32 v34, v42, v57
	v_sub_f16_e32 v54, v54, v55
	v_add_f16_e32 v55, v58, v36
	v_add_f16_e32 v57, v56, v35
	v_fmac_f16_e32 v42, -0.5, v33
	v_add_f16_e32 v33, v41, v58
	v_sub_f16_e32 v50, v50, v52
	v_fmac_f16_e32 v41, -0.5, v55
	v_sub_f16_e32 v49, v49, v51
	v_add_f16_e32 v34, v34, v53
	v_add_f16_e32 v33, v33, v36
	;; [unrolled: 1-line block ×3, first 2 shown]
	v_fmac_f16_e32 v21, -0.5, v57
	v_fmamk_f16 v51, v50, 0x3aee, v41
	v_fmac_f16_e32 v41, 0xbaee, v50
	v_fmamk_f16 v53, v54, 0x3aee, v42
	v_add_f16_e32 v35, v36, v35
	v_add_f16_e32 v36, v32, v31
	v_fmamk_f16 v50, v49, 0x3aee, v21
	v_fmac_f16_e32 v21, 0xbaee, v49
	v_add_f16_e32 v49, v38, v37
	v_add_f16_e32 v32, v16, v32
	v_fmac_f16_e32 v16, -0.5, v36
	v_sub_f16_e32 v36, v39, v40
	v_add_f16_e32 v38, v5, v38
	v_fmac_f16_e32 v5, -0.5, v49
	v_sub_f16_e32 v39, v6, v48
	v_fmac_f16_e32 v42, 0xbaee, v54
	v_fmamk_f16 v40, v36, 0x3aee, v16
	v_fmac_f16_e32 v16, 0xbaee, v36
	v_add_f16_e32 v32, v32, v31
	v_add_f16_e32 v6, v38, v37
	v_fmamk_f16 v31, v39, 0x3aee, v5
	v_fmac_f16_e32 v5, 0xbaee, v39
	s_waitcnt lgkmcnt(0)
	s_barrier
	buffer_gl0_inv
	ds_write_b16 v46, v34
	ds_write_b16 v46, v53 offset:34
	ds_write_b16 v46, v42 offset:68
	ds_write_b16 v47, v33
	ds_write_b16 v47, v51 offset:34
	ds_write_b16 v47, v41 offset:68
	;; [unrolled: 3-line block ×5, first 2 shown]
	s_waitcnt lgkmcnt(0)
	s_barrier
	buffer_gl0_inv
	ds_read_u16 v16, v0
	ds_read_u16 v35, v0 offset:2040
	ds_read_u16 v34, v0 offset:1734
	ds_read_u16 v41, v0 offset:1530
	ds_read_u16 v36, v0 offset:1224
	ds_read_u16 v42, v0 offset:1020
	ds_read_u16 v38, v0 offset:714
	ds_read_u16 v45, v0 offset:510
	ds_read_u16 v21, v0 offset:204
	ds_read_u16 v37, v0 offset:2754
	ds_read_u16 v43, v0 offset:2550
	ds_read_u16 v39, v0 offset:2244
                                        ; implicit-def: $vgpr33
	s_and_saveexec_b32 s1, s0
	s_cbranch_execz .LBB0_19
; %bb.18:
	ds_read_u16 v7, v0 offset:1938
	ds_read_u16 v6, v0 offset:408
	;; [unrolled: 1-line block ×5, first 2 shown]
	s_waitcnt lgkmcnt(4)
	ds_read_u16_d16_hi v7, v0 offset:2448
.LBB0_19:
	s_or_b32 exec_lo, exec_lo, s1
	v_mul_lo_u16 v19, 0xa1, v19
	v_subrev_nc_u32_e32 v32, 51, v10
	v_mov_b32_e32 v47, 0
	v_mov_b32_e32 v44, 5
	;; [unrolled: 1-line block ×3, first 2 shown]
	v_lshrrev_b16 v19, 13, v19
	v_cndmask_b32_e64 v32, v32, v10, s0
	v_lshrrev_b32_e32 v66, 16, v3
	s_waitcnt lgkmcnt(0)
	v_lshrrev_b32_e32 v67, 16, v7
	v_mul_lo_u16 v40, v19, 51
	v_mul_i32_i24_e32 v46, 5, v32
	v_lshlrev_b32_e32 v32, 1, v32
	v_sub_nc_u16 v40, v4, v40
	v_lshlrev_b64 v[46:47], 2, v[46:47]
	v_mul_u32_u24_sdwa v44, v40, v44 dst_sel:DWORD dst_unused:UNUSED_PAD src0_sel:BYTE_0 src1_sel:DWORD
	v_add_co_u32 v46, s1, s12, v46
	v_add_co_ci_u32_e64 v47, s1, s13, v47, s1
	v_lshlrev_b32_e32 v44, 2, v44
	v_cmp_lt_u32_e64 s1, 50, v10
	s_clause 0x2
	global_load_dwordx4 v[51:54], v[46:47], off offset:136
	global_load_dword v63, v[46:47], off offset:152
	global_load_dwordx4 v[55:58], v44, s[12:13] offset:136
	v_mul_u32_u24_sdwa v46, v1, v48 dst_sel:DWORD dst_unused:UNUSED_PAD src0_sel:WORD_0 src1_sel:DWORD
	global_load_dword v64, v44, s[12:13] offset:152
	v_mov_b32_e32 v47, 1
	v_cndmask_b32_e64 v48, 0, 0x264, s1
	v_lshrrev_b32_e32 v46, 21, v46
	v_lshlrev_b32_sdwa v40, v47, v40 dst_sel:DWORD dst_unused:UNUSED_PAD src0_sel:DWORD src1_sel:BYTE_0
	v_mul_lo_u16 v44, v46, 51
	v_sub_nc_u16 v44, v1, v44
	v_and_b32_e32 v46, 0xffff, v44
	v_mul_u32_u24_e32 v44, 5, v46
	v_lshlrev_b32_e32 v44, 2, v44
	s_clause 0x1
	global_load_dwordx4 v[59:62], v44, s[12:13] offset:136
	global_load_dword v65, v44, s[12:13] offset:152
	v_mov_b32_e32 v44, 0x264
	s_waitcnt vmcnt(0)
	s_barrier
	buffer_gl0_inv
	v_mul_u32_u24_sdwa v19, v19, v44 dst_sel:DWORD dst_unused:UNUSED_PAD src0_sel:WORD_0 src1_sel:DWORD
	v_add3_u32 v44, 0, v48, v32
	v_lshl_add_u32 v32, v46, 1, 0
	v_add3_u32 v40, 0, v19, v40
	v_mul_f16_sdwa v48, v45, v51 dst_sel:DWORD dst_unused:UNUSED_PAD src0_sel:DWORD src1_sel:WORD_1
	v_mul_f16_sdwa v68, v30, v51 dst_sel:DWORD dst_unused:UNUSED_PAD src0_sel:DWORD src1_sel:WORD_1
	;; [unrolled: 1-line block ×15, first 2 shown]
	v_fmac_f16_e32 v48, v30, v51
	v_fma_f16 v45, v45, v51, -v68
	v_fmac_f16_e32 v49, v28, v52
	v_fma_f16 v52, v42, v52, -v69
	v_fma_f16 v51, v41, v53, -v71
	;; [unrolled: 1-line block ×3, first 2 shown]
	v_mul_f16_sdwa v72, v22, v54 dst_sel:DWORD dst_unused:UNUSED_PAD src0_sel:DWORD src1_sel:WORD_1
	v_mul_f16_sdwa v75, v25, v55 dst_sel:DWORD dst_unused:UNUSED_PAD src0_sel:DWORD src1_sel:WORD_1
	;; [unrolled: 1-line block ×5, first 2 shown]
	v_fmac_f16_e32 v70, v27, v53
	v_fmac_f16_e32 v50, v22, v54
	;; [unrolled: 1-line block ×6, first 2 shown]
	v_fma_f16 v25, v34, v57, -v78
	v_fmac_f16_e32 v80, v24, v64
	v_fma_f16 v23, v37, v64, -v81
	v_add_f16_e32 v24, v14, v49
	v_add_f16_e32 v34, v51, v42
	v_fma_f16 v41, v35, v54, -v72
	v_fma_f16 v22, v38, v55, -v75
	;; [unrolled: 1-line block ×3, first 2 shown]
	v_fmac_f16_e32 v47, v26, v58
	v_fma_f16 v20, v39, v58, -v79
	v_add_f16_e32 v28, v49, v50
	v_add_f16_e32 v29, v48, v70
	;; [unrolled: 1-line block ×3, first 2 shown]
	v_sub_f16_e32 v37, v70, v73
	v_mul_f16_sdwa v39, v31, v59 dst_sel:DWORD dst_unused:UNUSED_PAD src0_sel:DWORD src1_sel:WORD_1
	v_mul_f16_sdwa v54, v17, v59 dst_sel:DWORD dst_unused:UNUSED_PAD src0_sel:DWORD src1_sel:WORD_1
	;; [unrolled: 1-line block ×7, first 2 shown]
	v_add_f16_e32 v63, v15, v46
	v_add_f16_e32 v69, v19, v77
	;; [unrolled: 1-line block ×4, first 2 shown]
	v_fma_f16 v24, -0.5, v34, v45
	v_sub_f16_e32 v35, v52, v41
	v_sub_f16_e32 v36, v51, v42
	v_mul_f16_sdwa v55, v2, v60 dst_sel:DWORD dst_unused:UNUSED_PAD src0_sel:DWORD src1_sel:WORD_1
	v_mul_f16_sdwa v57, v66, v62 dst_sel:DWORD dst_unused:UNUSED_PAD src0_sel:DWORD src1_sel:WORD_1
	v_add_f16_e32 v70, v77, v80
	v_sub_f16_e32 v74, v77, v80
	v_fmac_f16_e32 v14, -0.5, v28
	v_add_f16_e32 v73, v29, v73
	v_fmac_f16_e32 v48, -0.5, v30
	v_fmac_f16_e32 v39, v17, v59
	v_fma_f16 v30, v31, v59, -v54
	v_fmac_f16_e32 v26, v2, v60
	v_fmac_f16_e32 v53, v3, v61
	v_fma_f16 v31, v7, v61, -v56
	v_fmac_f16_e32 v43, v18, v65
	v_fma_f16 v29, v33, v65, -v58
	v_add_f16_e32 v18, v63, v47
	v_add_f16_e32 v33, v69, v80
	v_fma_f16 v2, -0.5, v72, v22
	v_fmamk_f16 v17, v37, 0x3aee, v24
	v_fmac_f16_e32 v24, 0xbaee, v37
	v_mul_f16_sdwa v27, v67, v62 dst_sel:DWORD dst_unused:UNUSED_PAD src0_sel:DWORD src1_sel:WORD_1
	v_add_f16_e32 v64, v46, v47
	v_sub_f16_e32 v71, v25, v23
	v_fma_f16 v34, v5, v60, -v55
	v_fma_f16 v28, v67, v62, -v57
	v_fmac_f16_e32 v19, -0.5, v70
	v_fmamk_f16 v54, v35, 0xbaee, v14
	v_fmac_f16_e32 v14, 0x3aee, v35
	v_fmamk_f16 v7, v36, 0xbaee, v48
	v_add_f16_e32 v35, v75, v73
	v_fmamk_f16 v5, v74, 0x3aee, v2
	v_fmac_f16_e32 v2, 0xbaee, v74
	v_add_f16_e32 v56, v18, v33
	v_sub_f16_e32 v18, v18, v33
	v_add_f16_e32 v33, v53, v43
	v_add_f16_e32 v57, v31, v29
	v_mul_f16_e32 v59, 0xbaee, v17
	v_fmac_f16_e32 v48, 0x3aee, v36
	v_sub_f16_e32 v36, v75, v73
	v_mul_f16_e32 v60, 0xbaee, v24
	v_sub_f16_e32 v68, v38, v20
	v_fmac_f16_e32 v27, v66, v62
	v_fmac_f16_e32 v15, -0.5, v64
	v_fmamk_f16 v3, v71, 0xbaee, v19
	v_fmac_f16_e32 v19, 0x3aee, v71
	v_sub_f16_e32 v37, v31, v29
	v_sub_f16_e32 v58, v53, v43
	ds_write_b16 v44, v35
	ds_write_b16 v44, v36 offset:306
	v_mul_f16_e32 v61, 0xbaee, v5
	v_mul_f16_e32 v62, 0xbaee, v2
	v_fma_f16 v33, -0.5, v33, v39
	v_fma_f16 v35, -0.5, v57, v30
	v_fmac_f16_e32 v59, 0.5, v7
	v_fmac_f16_e32 v60, -0.5, v48
	v_fmamk_f16 v55, v68, 0xbaee, v15
	v_fmac_f16_e32 v15, 0x3aee, v68
	v_fmac_f16_e32 v61, 0.5, v3
	v_fmac_f16_e32 v62, -0.5, v19
	v_fmamk_f16 v36, v37, 0xbaee, v33
	v_fmac_f16_e32 v33, 0x3aee, v37
	v_fmamk_f16 v37, v58, 0x3aee, v35
	v_fmac_f16_e32 v35, 0xbaee, v58
	v_add_f16_e32 v57, v54, v59
	v_add_f16_e32 v58, v14, v60
	v_sub_f16_e32 v54, v54, v59
	v_sub_f16_e32 v14, v14, v60
	v_add_f16_e32 v59, v55, v61
	v_add_f16_e32 v60, v15, v62
	v_sub_f16_e32 v55, v55, v61
	v_sub_f16_e32 v15, v15, v62
	ds_write_b16 v44, v57 offset:102
	ds_write_b16 v44, v58 offset:204
	;; [unrolled: 1-line block ×4, first 2 shown]
	ds_write_b16 v40, v56
	ds_write_b16 v40, v18 offset:306
	ds_write_b16 v40, v59 offset:102
	;; [unrolled: 1-line block ×5, first 2 shown]
	s_and_saveexec_b32 s1, s0
	s_cbranch_execz .LBB0_21
; %bb.20:
	v_add_f16_e32 v14, v26, v27
	v_add_f16_e32 v18, v11, v26
	;; [unrolled: 1-line block ×3, first 2 shown]
	v_sub_f16_e32 v15, v34, v28
	v_mul_f16_e32 v53, 0xbaee, v37
	v_fma_f16 v11, -0.5, v14, v11
	v_mul_f16_e32 v14, 0xbaee, v35
	v_add_f16_e32 v18, v18, v27
	v_add_f16_e32 v39, v39, v43
	v_fmac_f16_e32 v53, 0.5, v36
	v_fmamk_f16 v43, v15, 0x3aee, v11
	v_fmac_f16_e32 v11, 0xbaee, v15
	v_fmac_f16_e32 v14, -0.5, v33
	v_sub_f16_e32 v15, v18, v39
	v_add_f16_e32 v18, v18, v39
	v_add_f16_e32 v39, v11, v53
	;; [unrolled: 1-line block ×3, first 2 shown]
	v_sub_f16_e32 v11, v11, v53
	v_sub_f16_e32 v14, v43, v14
	ds_write_b16 v32, v18 offset:2448
	ds_write_b16 v32, v39 offset:2550
	;; [unrolled: 1-line block ×6, first 2 shown]
.LBB0_21:
	s_or_b32 exec_lo, exec_lo, s1
	v_add_f16_e32 v11, v52, v41
	v_add_f16_e32 v14, v16, v52
	v_sub_f16_e32 v15, v49, v50
	v_add_f16_e32 v18, v45, v51
	v_mul_f16_e32 v17, 0.5, v17
	v_fmac_f16_e32 v16, -0.5, v11
	v_mul_f16_e32 v11, -0.5, v24
	v_add_f16_e32 v14, v14, v41
	v_add_f16_e32 v18, v18, v42
	v_fmac_f16_e32 v17, 0x3aee, v7
	v_fmamk_f16 v7, v15, 0x3aee, v16
	v_fmac_f16_e32 v16, 0xbaee, v15
	v_add_f16_e32 v15, v38, v20
	v_fmac_f16_e32 v11, 0x3aee, v48
	v_add_f16_e32 v39, v14, v18
	v_sub_f16_e32 v43, v14, v18
	v_add_f16_e32 v14, v21, v38
	v_fmac_f16_e32 v21, -0.5, v15
	v_sub_f16_e32 v15, v46, v47
	v_add_f16_e32 v18, v22, v25
	v_mul_f16_e32 v38, 0.5, v5
	v_mul_f16_e32 v49, -0.5, v2
	v_add_f16_e32 v41, v7, v17
	v_add_f16_e32 v42, v16, v11
	v_sub_f16_e32 v45, v7, v17
	v_add_f16_e32 v46, v14, v20
	v_fmamk_f16 v47, v15, 0x3aee, v21
	v_add_f16_e32 v48, v18, v23
	v_fmac_f16_e32 v38, 0x3aee, v3
	v_sub_f16_e32 v11, v16, v11
	v_fmac_f16_e32 v21, 0xbaee, v15
	v_fmac_f16_e32 v49, 0x3aee, v19
	s_waitcnt lgkmcnt(0)
	s_barrier
	buffer_gl0_inv
	ds_read_u16 v2, v0
	ds_read_u16 v3, v0 offset:204
	ds_read_u16 v17, v0 offset:816
	;; [unrolled: 1-line block ×14, first 2 shown]
	v_add_f16_e32 v50, v46, v48
	v_add_f16_e32 v51, v47, v38
	;; [unrolled: 1-line block ×3, first 2 shown]
	v_sub_f16_e32 v46, v46, v48
	v_sub_f16_e32 v38, v47, v38
	;; [unrolled: 1-line block ×3, first 2 shown]
	s_waitcnt lgkmcnt(0)
	s_barrier
	buffer_gl0_inv
	ds_write_b16 v44, v39
	ds_write_b16 v44, v41 offset:102
	ds_write_b16 v44, v42 offset:204
	;; [unrolled: 1-line block ×5, first 2 shown]
	ds_write_b16 v40, v50
	ds_write_b16 v40, v51 offset:102
	ds_write_b16 v40, v52 offset:204
	;; [unrolled: 1-line block ×5, first 2 shown]
	s_and_saveexec_b32 s1, s0
	s_cbranch_execz .LBB0_23
; %bb.22:
	v_add_f16_e32 v11, v34, v28
	v_add_f16_e32 v21, v6, v34
	v_sub_f16_e32 v26, v26, v27
	v_add_f16_e32 v27, v30, v31
	v_mul_f16_e32 v30, 0.5, v37
	v_fmac_f16_e32 v6, -0.5, v11
	v_mul_f16_e32 v11, -0.5, v35
	v_add_f16_e32 v21, v21, v28
	v_add_f16_e32 v27, v27, v29
	v_fmac_f16_e32 v30, 0x3aee, v36
	v_fmamk_f16 v28, v26, 0x3aee, v6
	v_fmac_f16_e32 v11, 0x3aee, v33
	v_fmamk_f16 v6, v26, 0xbaee, v6
	v_add_f16_e32 v26, v21, v27
	v_sub_f16_e32 v21, v21, v27
	v_add_f16_e32 v27, v28, v30
	v_sub_f16_e32 v28, v28, v30
	;; [unrolled: 2-line block ×3, first 2 shown]
	ds_write_b16 v32, v26 offset:2448
	ds_write_b16 v32, v27 offset:2550
	;; [unrolled: 1-line block ×6, first 2 shown]
.LBB0_23:
	s_or_b32 exec_lo, exec_lo, s1
	s_waitcnt lgkmcnt(0)
	s_barrier
	buffer_gl0_inv
	s_and_saveexec_b32 s0, vcc_lo
	s_cbranch_execz .LBB0_25
; %bb.24:
	v_lshlrev_b32_e32 v38, 2, v1
	v_mov_b32_e32 v39, 0
	v_mul_lo_u32 v6, s2, v13
	v_lshlrev_b64 v[26:27], 2, v[38:39]
	v_lshlrev_b32_e32 v38, 2, v4
	v_mul_lo_u32 v4, s3, v12
	v_mad_u64_u32 v[11:12], null, s2, v12, 0
	v_lshlrev_b64 v[30:31], 2, v[38:39]
	v_lshlrev_b32_e32 v38, 2, v10
	v_add_co_u32 v26, vcc_lo, s12, v26
	v_add_co_ci_u32_e32 v27, vcc_lo, s13, v27, vcc_lo
	v_lshlrev_b64 v[34:35], 2, v[38:39]
	v_add_co_u32 v30, vcc_lo, s12, v30
	global_load_dwordx4 v[26:29], v[26:27], off offset:1156
	v_add_co_ci_u32_e32 v31, vcc_lo, s13, v31, vcc_lo
	v_add_co_u32 v34, vcc_lo, s12, v34
	v_add_co_ci_u32_e32 v35, vcc_lo, s13, v35, vcc_lo
	global_load_dwordx4 v[30:33], v[30:31], off offset:1156
	v_add3_u32 v12, v12, v6, v4
	v_mul_hi_u32 v4, 0xd62b80d7, v1
	global_load_dwordx4 v[34:37], v[34:35], off offset:1156
	ds_read_u16 v21, v0 offset:1632
	ds_read_u16 v42, v0 offset:1428
	;; [unrolled: 1-line block ×14, first 2 shown]
	ds_read_u16 v54, v0
	v_lshlrev_b64 v[12:13], 2, v[11:12]
	v_lshlrev_b64 v[0:1], 2, v[8:9]
	v_mov_b32_e32 v11, v39
	v_lshrrev_b32_e32 v4, 8, v4
	v_add_co_u32 v12, vcc_lo, s10, v12
	v_mul_u32_u24_e32 v38, 0x4c8, v4
	v_add_co_ci_u32_e32 v13, vcc_lo, s11, v13, vcc_lo
	v_lshlrev_b64 v[8:9], 2, v[10:11]
	v_add_co_u32 v0, vcc_lo, v12, v0
	v_add_co_ci_u32_e32 v1, vcc_lo, v13, v1, vcc_lo
	v_add_co_u32 v0, vcc_lo, v0, v8
	v_add_co_ci_u32_e32 v1, vcc_lo, v1, v9, vcc_lo
	v_lshlrev_b64 v[8:9], 2, v[38:39]
	v_add_co_u32 v10, vcc_lo, 0x800, v0
	v_add_co_ci_u32_e32 v11, vcc_lo, 0, v1, vcc_lo
	v_add_co_u32 v8, vcc_lo, v0, v8
	v_add_co_ci_u32_e32 v9, vcc_lo, v1, v9, vcc_lo
	;; [unrolled: 2-line block ×5, first 2 shown]
	s_waitcnt vmcnt(2)
	v_mul_f16_sdwa v4, v25, v27 dst_sel:DWORD dst_unused:UNUSED_PAD src0_sel:DWORD src1_sel:WORD_1
	v_mul_f16_sdwa v55, v22, v26 dst_sel:DWORD dst_unused:UNUSED_PAD src0_sel:DWORD src1_sel:WORD_1
	v_mul_f16_sdwa v56, v24, v28 dst_sel:DWORD dst_unused:UNUSED_PAD src0_sel:DWORD src1_sel:WORD_1
	v_mul_f16_sdwa v57, v23, v29 dst_sel:DWORD dst_unused:UNUSED_PAD src0_sel:DWORD src1_sel:WORD_1
	s_waitcnt lgkmcnt(14)
	v_mul_f16_sdwa v58, v21, v27 dst_sel:DWORD dst_unused:UNUSED_PAD src0_sel:DWORD src1_sel:WORD_1
	s_waitcnt lgkmcnt(5)
	v_mul_f16_sdwa v59, v6, v28 dst_sel:DWORD dst_unused:UNUSED_PAD src0_sel:DWORD src1_sel:WORD_1
	v_mul_f16_sdwa v60, v44, v26 dst_sel:DWORD dst_unused:UNUSED_PAD src0_sel:DWORD src1_sel:WORD_1
	;; [unrolled: 1-line block ×3, first 2 shown]
	v_fma_f16 v4, v21, v27, -v4
	v_fma_f16 v21, v44, v26, -v55
	;; [unrolled: 1-line block ×4, first 2 shown]
	v_fmac_f16_e32 v58, v25, v27
	v_fmac_f16_e32 v59, v24, v28
	;; [unrolled: 1-line block ×4, first 2 shown]
	s_waitcnt vmcnt(1)
	v_mul_f16_sdwa v22, v18, v31 dst_sel:DWORD dst_unused:UNUSED_PAD src0_sel:DWORD src1_sel:WORD_1
	v_mul_f16_sdwa v23, v17, v30 dst_sel:DWORD dst_unused:UNUSED_PAD src0_sel:DWORD src1_sel:WORD_1
	;; [unrolled: 1-line block ×5, first 2 shown]
	s_waitcnt lgkmcnt(4)
	v_mul_f16_sdwa v27, v50, v32 dst_sel:DWORD dst_unused:UNUSED_PAD src0_sel:DWORD src1_sel:WORD_1
	v_mul_f16_sdwa v28, v45, v30 dst_sel:DWORD dst_unused:UNUSED_PAD src0_sel:DWORD src1_sel:WORD_1
	;; [unrolled: 1-line block ×3, first 2 shown]
	v_sub_f16_e32 v47, v4, v21
	v_sub_f16_e32 v55, v6, v44
	v_add_f16_e32 v57, v21, v44
	v_sub_f16_e32 v62, v60, v61
	v_sub_f16_e32 v63, v21, v4
	;; [unrolled: 1-line block ×3, first 2 shown]
	v_add_f16_e32 v65, v4, v6
	s_waitcnt lgkmcnt(2)
	v_add_f16_e32 v66, v21, v52
	v_sub_f16_e32 v67, v58, v60
	v_sub_f16_e32 v68, v59, v61
	v_add_f16_e32 v69, v60, v61
	v_sub_f16_e32 v71, v60, v58
	v_sub_f16_e32 v72, v61, v59
	v_add_f16_e32 v73, v58, v59
	v_add_f16_e32 v60, v16, v60
	v_fma_f16 v22, v42, v31, -v22
	v_fma_f16 v23, v45, v30, -v23
	;; [unrolled: 1-line block ×4, first 2 shown]
	v_fmac_f16_e32 v26, v18, v31
	v_fmac_f16_e32 v27, v19, v32
	;; [unrolled: 1-line block ×4, first 2 shown]
	s_waitcnt vmcnt(0)
	v_mul_f16_sdwa v17, v7, v34 dst_sel:DWORD dst_unused:UNUSED_PAD src0_sel:DWORD src1_sel:WORD_1
	v_mul_f16_sdwa v18, v5, v35 dst_sel:DWORD dst_unused:UNUSED_PAD src0_sel:DWORD src1_sel:WORD_1
	;; [unrolled: 1-line block ×8, first 2 shown]
	v_sub_f16_e32 v56, v58, v59
	v_sub_f16_e32 v70, v4, v6
	v_add_f16_e32 v42, v47, v55
	v_fma_f16 v45, -0.5, v57, v52
	v_add_f16_e32 v47, v63, v64
	v_fma_f16 v48, -0.5, v65, v52
	v_add_f16_e32 v4, v4, v66
	v_add_f16_e32 v50, v67, v68
	v_fma_f16 v52, -0.5, v69, v16
	v_add_f16_e32 v55, v71, v72
	v_fma_f16 v16, -0.5, v73, v16
	v_add_f16_e32 v57, v58, v60
	v_sub_f16_e32 v58, v22, v23
	v_sub_f16_e32 v60, v24, v25
	v_add_f16_e32 v64, v23, v25
	v_sub_f16_e32 v65, v28, v29
	v_sub_f16_e32 v66, v26, v28
	;; [unrolled: 1-line block ×4, first 2 shown]
	v_add_f16_e32 v69, v28, v29
	v_sub_f16_e32 v72, v23, v22
	v_sub_f16_e32 v73, v25, v24
	v_add_f16_e32 v74, v22, v24
	v_sub_f16_e32 v75, v28, v26
	v_sub_f16_e32 v76, v29, v27
	s_waitcnt lgkmcnt(1)
	v_add_f16_e32 v23, v23, v53
	v_add_f16_e32 v28, v3, v28
	v_fma_f16 v17, v46, v34, -v17
	v_fma_f16 v18, v43, v35, -v18
	;; [unrolled: 1-line block ×4, first 2 shown]
	v_fmac_f16_e32 v30, v7, v34
	v_fmac_f16_e32 v31, v15, v37
	;; [unrolled: 1-line block ×4, first 2 shown]
	v_add_f16_e32 v77, v26, v27
	v_sub_f16_e32 v21, v21, v44
	v_sub_f16_e32 v63, v26, v27
	;; [unrolled: 1-line block ×3, first 2 shown]
	v_add_f16_e32 v34, v58, v60
	v_fma_f16 v35, -0.5, v64, v53
	v_add_f16_e32 v36, v66, v67
	v_add_f16_e32 v43, v72, v73
	v_fma_f16 v46, -0.5, v74, v53
	v_add_f16_e32 v49, v75, v76
	v_add_f16_e32 v22, v22, v23
	;; [unrolled: 1-line block ×3, first 2 shown]
	v_sub_f16_e32 v26, v17, v18
	v_sub_f16_e32 v28, v19, v20
	v_add_f16_e32 v51, v18, v20
	v_sub_f16_e32 v53, v30, v31
	v_sub_f16_e32 v58, v30, v32
	v_add_f16_e32 v60, v32, v33
	v_sub_f16_e32 v64, v17, v19
	v_sub_f16_e32 v67, v18, v17
	v_add_f16_e32 v72, v17, v19
	v_sub_f16_e32 v73, v32, v30
	v_add_f16_e32 v75, v30, v31
	s_waitcnt lgkmcnt(0)
	v_add_f16_e32 v17, v17, v54
	v_add_f16_e32 v30, v2, v30
	v_fmamk_f16 v7, v62, 0xbb9c, v48
	v_fmac_f16_e32 v48, 0x3b9c, v62
	v_add_f16_e32 v15, v57, v59
	v_fma_f16 v37, -0.5, v69, v3
	v_fma_f16 v3, -0.5, v77, v3
	v_add_f16_e32 v4, v6, v4
	v_fmamk_f16 v6, v70, 0xbb9c, v52
	v_fmac_f16_e32 v52, 0x3b9c, v70
	v_fmamk_f16 v5, v56, 0x3b9c, v45
	v_fmamk_f16 v14, v21, 0x3b9c, v16
	v_sub_f16_e32 v66, v18, v20
	v_add_f16_e32 v22, v24, v22
	v_add_f16_e32 v23, v23, v27
	;; [unrolled: 1-line block ×3, first 2 shown]
	v_fma_f16 v26, -0.5, v51, v54
	v_fma_f16 v28, -0.5, v60, v2
	v_add_f16_e32 v17, v18, v17
	v_add_f16_e32 v18, v30, v32
	v_fmac_f16_e32 v45, 0xbb9c, v56
	v_sub_f16_e32 v57, v32, v33
	v_fmac_f16_e32 v7, 0xb8b4, v56
	v_fmac_f16_e32 v48, 0x38b4, v56
	v_add_f16_e32 v15, v15, v61
	v_fmamk_f16 v56, v65, 0x3b9c, v46
	v_fmamk_f16 v61, v68, 0xbb9c, v3
	v_fma_f16 v54, -0.5, v72, v54
	v_fma_f16 v2, -0.5, v75, v2
	v_fmac_f16_e32 v16, 0xbb9c, v21
	v_add_f16_e32 v4, v44, v4
	v_fmac_f16_e32 v6, 0x38b4, v21
	v_fmac_f16_e32 v52, 0xb8b4, v21
	v_fmamk_f16 v21, v63, 0x3b9c, v35
	v_fmamk_f16 v44, v71, 0xbb9c, v37
	v_fmac_f16_e32 v35, 0xbb9c, v63
	v_fmac_f16_e32 v37, 0x3b9c, v71
	;; [unrolled: 1-line block ×4, first 2 shown]
	v_sub_f16_e32 v59, v31, v33
	v_fmac_f16_e32 v5, 0xb8b4, v62
	v_fmac_f16_e32 v14, 0x38b4, v70
	v_add_f16_e32 v22, v25, v22
	v_add_f16_e32 v23, v23, v29
	v_fmamk_f16 v25, v53, 0xbb9c, v26
	v_fmamk_f16 v29, v64, 0x3b9c, v28
	v_fmac_f16_e32 v26, 0x3b9c, v53
	v_fmac_f16_e32 v28, 0xbb9c, v64
	v_add_f16_e32 v17, v20, v17
	v_add_f16_e32 v18, v18, v33
	v_sub_f16_e32 v69, v20, v19
	v_sub_f16_e32 v74, v33, v31
	v_fmac_f16_e32 v56, 0x38b4, v63
	v_fmac_f16_e32 v61, 0xb8b4, v71
	v_fmamk_f16 v30, v57, 0x3b9c, v54
	v_fmamk_f16 v32, v66, 0xbb9c, v2
	v_fmac_f16_e32 v54, 0xbb9c, v57
	v_fmac_f16_e32 v2, 0x3b9c, v66
	;; [unrolled: 1-line block ×8, first 2 shown]
	v_add_f16_e32 v27, v58, v59
	v_fmac_f16_e32 v5, 0x34f2, v42
	v_fmac_f16_e32 v7, 0x34f2, v47
	;; [unrolled: 1-line block ×4, first 2 shown]
	v_pack_b32_f16 v4, v15, v4
	v_fmac_f16_e32 v26, 0x38b4, v57
	v_fmac_f16_e32 v28, 0xb8b4, v66
	v_add_f16_e32 v15, v19, v17
	v_add_f16_e32 v17, v31, v18
	v_fmac_f16_e32 v45, 0x38b4, v62
	v_fmac_f16_e32 v16, 0xb8b4, v70
	v_add_f16_e32 v51, v67, v69
	v_add_f16_e32 v58, v73, v74
	v_fmac_f16_e32 v56, 0x34f2, v43
	v_fmac_f16_e32 v61, 0x34f2, v49
	;; [unrolled: 1-line block ×14, first 2 shown]
	v_pack_b32_f16 v5, v6, v5
	v_pack_b32_f16 v6, v14, v7
	v_fmac_f16_e32 v26, 0x34f2, v24
	v_fmac_f16_e32 v28, 0x34f2, v27
	v_pack_b32_f16 v7, v17, v15
	v_fmac_f16_e32 v45, 0x34f2, v42
	v_fmac_f16_e32 v48, 0x34f2, v47
	;; [unrolled: 1-line block ×4, first 2 shown]
	v_pack_b32_f16 v18, v23, v22
	v_fmac_f16_e32 v25, 0x34f2, v24
	v_fmac_f16_e32 v29, 0x34f2, v27
	;; [unrolled: 1-line block ×6, first 2 shown]
	v_pack_b32_f16 v14, v61, v56
	v_pack_b32_f16 v15, v37, v35
	v_pack_b32_f16 v17, v44, v21
	v_pack_b32_f16 v3, v3, v46
	global_store_dword v[0:1], v7, off
	v_pack_b32_f16 v7, v28, v26
	v_pack_b32_f16 v16, v16, v48
	;; [unrolled: 1-line block ×3, first 2 shown]
	global_store_dword v[0:1], v18, off offset:408
	v_pack_b32_f16 v2, v2, v54
	v_pack_b32_f16 v18, v32, v30
	;; [unrolled: 1-line block ×3, first 2 shown]
	global_store_dword v[0:1], v14, off offset:1632
	global_store_dword v[10:11], v15, off offset:808
	;; [unrolled: 1-line block ×13, first 2 shown]
.LBB0_25:
	s_endpgm
	.section	.rodata,"a",@progbits
	.p2align	6, 0x0
	.amdhsa_kernel fft_rtc_back_len1530_factors_17_3_6_5_wgs_102_tpt_102_halfLds_half_op_CI_CI_unitstride_sbrr_dirReg
		.amdhsa_group_segment_fixed_size 0
		.amdhsa_private_segment_fixed_size 0
		.amdhsa_kernarg_size 104
		.amdhsa_user_sgpr_count 6
		.amdhsa_user_sgpr_private_segment_buffer 1
		.amdhsa_user_sgpr_dispatch_ptr 0
		.amdhsa_user_sgpr_queue_ptr 0
		.amdhsa_user_sgpr_kernarg_segment_ptr 1
		.amdhsa_user_sgpr_dispatch_id 0
		.amdhsa_user_sgpr_flat_scratch_init 0
		.amdhsa_user_sgpr_private_segment_size 0
		.amdhsa_wavefront_size32 1
		.amdhsa_uses_dynamic_stack 0
		.amdhsa_system_sgpr_private_segment_wavefront_offset 0
		.amdhsa_system_sgpr_workgroup_id_x 1
		.amdhsa_system_sgpr_workgroup_id_y 0
		.amdhsa_system_sgpr_workgroup_id_z 0
		.amdhsa_system_sgpr_workgroup_info 0
		.amdhsa_system_vgpr_workitem_id 0
		.amdhsa_next_free_vgpr 103
		.amdhsa_next_free_sgpr 27
		.amdhsa_reserve_vcc 1
		.amdhsa_reserve_flat_scratch 0
		.amdhsa_float_round_mode_32 0
		.amdhsa_float_round_mode_16_64 0
		.amdhsa_float_denorm_mode_32 3
		.amdhsa_float_denorm_mode_16_64 3
		.amdhsa_dx10_clamp 1
		.amdhsa_ieee_mode 1
		.amdhsa_fp16_overflow 0
		.amdhsa_workgroup_processor_mode 1
		.amdhsa_memory_ordered 1
		.amdhsa_forward_progress 0
		.amdhsa_shared_vgpr_count 0
		.amdhsa_exception_fp_ieee_invalid_op 0
		.amdhsa_exception_fp_denorm_src 0
		.amdhsa_exception_fp_ieee_div_zero 0
		.amdhsa_exception_fp_ieee_overflow 0
		.amdhsa_exception_fp_ieee_underflow 0
		.amdhsa_exception_fp_ieee_inexact 0
		.amdhsa_exception_int_div_zero 0
	.end_amdhsa_kernel
	.text
.Lfunc_end0:
	.size	fft_rtc_back_len1530_factors_17_3_6_5_wgs_102_tpt_102_halfLds_half_op_CI_CI_unitstride_sbrr_dirReg, .Lfunc_end0-fft_rtc_back_len1530_factors_17_3_6_5_wgs_102_tpt_102_halfLds_half_op_CI_CI_unitstride_sbrr_dirReg
                                        ; -- End function
	.section	.AMDGPU.csdata,"",@progbits
; Kernel info:
; codeLenInByte = 12820
; NumSgprs: 29
; NumVgprs: 103
; ScratchSize: 0
; MemoryBound: 0
; FloatMode: 240
; IeeeMode: 1
; LDSByteSize: 0 bytes/workgroup (compile time only)
; SGPRBlocks: 3
; VGPRBlocks: 12
; NumSGPRsForWavesPerEU: 29
; NumVGPRsForWavesPerEU: 103
; Occupancy: 9
; WaveLimiterHint : 1
; COMPUTE_PGM_RSRC2:SCRATCH_EN: 0
; COMPUTE_PGM_RSRC2:USER_SGPR: 6
; COMPUTE_PGM_RSRC2:TRAP_HANDLER: 0
; COMPUTE_PGM_RSRC2:TGID_X_EN: 1
; COMPUTE_PGM_RSRC2:TGID_Y_EN: 0
; COMPUTE_PGM_RSRC2:TGID_Z_EN: 0
; COMPUTE_PGM_RSRC2:TIDIG_COMP_CNT: 0
	.text
	.p2alignl 6, 3214868480
	.fill 48, 4, 3214868480
	.type	__hip_cuid_c04d00886ebe73c7,@object ; @__hip_cuid_c04d00886ebe73c7
	.section	.bss,"aw",@nobits
	.globl	__hip_cuid_c04d00886ebe73c7
__hip_cuid_c04d00886ebe73c7:
	.byte	0                               ; 0x0
	.size	__hip_cuid_c04d00886ebe73c7, 1

	.ident	"AMD clang version 19.0.0git (https://github.com/RadeonOpenCompute/llvm-project roc-6.4.0 25133 c7fe45cf4b819c5991fe208aaa96edf142730f1d)"
	.section	".note.GNU-stack","",@progbits
	.addrsig
	.addrsig_sym __hip_cuid_c04d00886ebe73c7
	.amdgpu_metadata
---
amdhsa.kernels:
  - .args:
      - .actual_access:  read_only
        .address_space:  global
        .offset:         0
        .size:           8
        .value_kind:     global_buffer
      - .offset:         8
        .size:           8
        .value_kind:     by_value
      - .actual_access:  read_only
        .address_space:  global
        .offset:         16
        .size:           8
        .value_kind:     global_buffer
      - .actual_access:  read_only
        .address_space:  global
        .offset:         24
        .size:           8
        .value_kind:     global_buffer
      - .actual_access:  read_only
        .address_space:  global
        .offset:         32
        .size:           8
        .value_kind:     global_buffer
      - .offset:         40
        .size:           8
        .value_kind:     by_value
      - .actual_access:  read_only
        .address_space:  global
        .offset:         48
        .size:           8
        .value_kind:     global_buffer
      - .actual_access:  read_only
        .address_space:  global
        .offset:         56
        .size:           8
        .value_kind:     global_buffer
      - .offset:         64
        .size:           4
        .value_kind:     by_value
      - .actual_access:  read_only
        .address_space:  global
        .offset:         72
        .size:           8
        .value_kind:     global_buffer
      - .actual_access:  read_only
        .address_space:  global
        .offset:         80
        .size:           8
        .value_kind:     global_buffer
      - .actual_access:  read_only
        .address_space:  global
        .offset:         88
        .size:           8
        .value_kind:     global_buffer
      - .actual_access:  write_only
        .address_space:  global
        .offset:         96
        .size:           8
        .value_kind:     global_buffer
    .group_segment_fixed_size: 0
    .kernarg_segment_align: 8
    .kernarg_segment_size: 104
    .language:       OpenCL C
    .language_version:
      - 2
      - 0
    .max_flat_workgroup_size: 102
    .name:           fft_rtc_back_len1530_factors_17_3_6_5_wgs_102_tpt_102_halfLds_half_op_CI_CI_unitstride_sbrr_dirReg
    .private_segment_fixed_size: 0
    .sgpr_count:     29
    .sgpr_spill_count: 0
    .symbol:         fft_rtc_back_len1530_factors_17_3_6_5_wgs_102_tpt_102_halfLds_half_op_CI_CI_unitstride_sbrr_dirReg.kd
    .uniform_work_group_size: 1
    .uses_dynamic_stack: false
    .vgpr_count:     103
    .vgpr_spill_count: 0
    .wavefront_size: 32
    .workgroup_processor_mode: 1
amdhsa.target:   amdgcn-amd-amdhsa--gfx1030
amdhsa.version:
  - 1
  - 2
...

	.end_amdgpu_metadata
